;; amdgpu-corpus repo=ROCm/rocFFT kind=compiled arch=gfx906 opt=O3
	.text
	.amdgcn_target "amdgcn-amd-amdhsa--gfx906"
	.amdhsa_code_object_version 6
	.protected	bluestein_single_fwd_len819_dim1_half_op_CI_CI ; -- Begin function bluestein_single_fwd_len819_dim1_half_op_CI_CI
	.globl	bluestein_single_fwd_len819_dim1_half_op_CI_CI
	.p2align	8
	.type	bluestein_single_fwd_len819_dim1_half_op_CI_CI,@function
bluestein_single_fwd_len819_dim1_half_op_CI_CI: ; @bluestein_single_fwd_len819_dim1_half_op_CI_CI
; %bb.0:
	s_load_dwordx4 s[0:3], s[4:5], 0x28
	v_mul_u32_u24_e32 v1, 0x231, v0
	v_add_u32_sdwa v16, s6, v1 dst_sel:DWORD dst_unused:UNUSED_PAD src0_sel:DWORD src1_sel:WORD_1
	v_mov_b32_e32 v17, 0
	s_waitcnt lgkmcnt(0)
	v_cmp_gt_u64_e32 vcc, s[0:1], v[16:17]
	s_and_saveexec_b64 s[0:1], vcc
	s_cbranch_execz .LBB0_23
; %bb.1:
	s_load_dwordx2 s[6:7], s[4:5], 0x0
	s_load_dwordx2 s[12:13], s[4:5], 0x38
	s_movk_i32 s0, 0x75
	v_mul_lo_u16_sdwa v1, v1, s0 dst_sel:DWORD dst_unused:UNUSED_PAD src0_sel:WORD_1 src1_sel:DWORD
	v_sub_u16_e32 v32, v0, v1
	s_movk_i32 s0, 0x5b
	v_cmp_gt_u16_e32 vcc, s0, v32
	v_lshlrev_b32_e32 v31, 2, v32
	s_and_saveexec_b64 s[8:9], vcc
	s_cbranch_execz .LBB0_3
; %bb.2:
	s_load_dwordx2 s[0:1], s[4:5], 0x18
	s_waitcnt lgkmcnt(0)
	s_load_dwordx4 s[16:19], s[0:1], 0x0
	s_waitcnt lgkmcnt(0)
	v_mad_u64_u32 v[0:1], s[0:1], s18, v16, 0
	v_mad_u64_u32 v[2:3], s[0:1], s16, v32, 0
	;; [unrolled: 1-line block ×4, first 2 shown]
	v_mov_b32_e32 v1, v4
	v_lshlrev_b64 v[0:1], 2, v[0:1]
	v_mov_b32_e32 v3, v5
	v_mov_b32_e32 v6, s3
	v_lshlrev_b64 v[2:3], 2, v[2:3]
	v_add_co_u32_e64 v0, s[0:1], s2, v0
	v_addc_co_u32_e64 v1, s[0:1], v6, v1, s[0:1]
	v_add_co_u32_e64 v0, s[0:1], v0, v2
	v_addc_co_u32_e64 v1, s[0:1], v1, v3, s[0:1]
	s_mul_i32 s0, s17, 0x16c
	s_mul_hi_u32 s1, s16, 0x16c
	s_add_i32 s2, s1, s0
	s_mul_i32 s3, s16, 0x16c
	v_mov_b32_e32 v3, s2
	v_add_co_u32_e64 v2, s[0:1], s3, v0
	v_addc_co_u32_e64 v3, s[0:1], v1, v3, s[0:1]
	global_load_dword v4, v[0:1], off
	global_load_dword v5, v[2:3], off
	global_load_dword v6, v31, s[6:7]
	global_load_dword v7, v31, s[6:7] offset:364
	v_mov_b32_e32 v1, s2
	v_add_co_u32_e64 v0, s[0:1], s3, v2
	v_addc_co_u32_e64 v1, s[0:1], v3, v1, s[0:1]
	global_load_dword v2, v[0:1], off
	global_load_dword v3, v31, s[6:7] offset:728
	v_mov_b32_e32 v8, s2
	v_add_co_u32_e64 v0, s[0:1], s3, v0
	v_addc_co_u32_e64 v1, s[0:1], v1, v8, s[0:1]
	global_load_dword v8, v[0:1], off
	;; [unrolled: 5-line block ×7, first 2 shown]
	global_load_dword v20, v31, s[6:7] offset:2912
	s_waitcnt vmcnt(17)
	v_lshrrev_b32_e32 v0, 16, v4
	s_waitcnt vmcnt(15)
	v_mul_f16_sdwa v1, v6, v4 dst_sel:DWORD dst_unused:UNUSED_PAD src0_sel:WORD_1 src1_sel:DWORD
	v_mul_f16_sdwa v21, v6, v0 dst_sel:DWORD dst_unused:UNUSED_PAD src0_sel:WORD_1 src1_sel:DWORD
	v_fma_f16 v0, v6, v0, -v1
	v_lshrrev_b32_e32 v1, 16, v5
	s_waitcnt vmcnt(14)
	v_mul_f16_sdwa v22, v7, v5 dst_sel:DWORD dst_unused:UNUSED_PAD src0_sel:WORD_1 src1_sel:DWORD
	v_fma_f16 v4, v6, v4, v21
	v_mul_f16_sdwa v6, v7, v1 dst_sel:DWORD dst_unused:UNUSED_PAD src0_sel:WORD_1 src1_sel:DWORD
	s_waitcnt vmcnt(13)
	v_lshrrev_b32_e32 v21, 16, v2
	v_fma_f16 v1, v7, v1, -v22
	s_waitcnt vmcnt(12)
	v_mul_f16_sdwa v22, v3, v2 dst_sel:DWORD dst_unused:UNUSED_PAD src0_sel:WORD_1 src1_sel:DWORD
	v_pack_b32_f16 v0, v4, v0
	v_fma_f16 v4, v7, v5, v6
	v_mul_f16_sdwa v5, v3, v21 dst_sel:DWORD dst_unused:UNUSED_PAD src0_sel:WORD_1 src1_sel:DWORD
	s_waitcnt vmcnt(11)
	v_lshrrev_b32_e32 v7, 16, v8
	v_fma_f16 v6, v3, v21, -v22
	s_waitcnt vmcnt(10)
	v_mul_f16_sdwa v21, v9, v8 dst_sel:DWORD dst_unused:UNUSED_PAD src0_sel:WORD_1 src1_sel:DWORD
	v_pack_b32_f16 v1, v4, v1
	v_fma_f16 v2, v3, v2, v5
	v_mul_f16_sdwa v3, v9, v7 dst_sel:DWORD dst_unused:UNUSED_PAD src0_sel:WORD_1 src1_sel:DWORD
	ds_write2_b32 v31, v0, v1 offset1:91
	v_pack_b32_f16 v0, v2, v6
	v_fma_f16 v1, v9, v8, v3
	v_fma_f16 v2, v9, v7, -v21
	v_pack_b32_f16 v1, v1, v2
	v_add_u32_e32 v2, 0x200, v31
	ds_write2_b32 v2, v0, v1 offset0:54 offset1:145
	s_waitcnt vmcnt(9)
	v_lshrrev_b32_e32 v0, 16, v10
	s_waitcnt vmcnt(8)
	v_mul_f16_sdwa v1, v11, v0 dst_sel:DWORD dst_unused:UNUSED_PAD src0_sel:WORD_1 src1_sel:DWORD
	v_mul_f16_sdwa v2, v11, v10 dst_sel:DWORD dst_unused:UNUSED_PAD src0_sel:WORD_1 src1_sel:DWORD
	v_fma_f16 v1, v11, v10, v1
	v_fma_f16 v0, v11, v0, -v2
	v_pack_b32_f16 v0, v1, v0
	s_waitcnt vmcnt(7)
	v_lshrrev_b32_e32 v1, 16, v12
	s_waitcnt vmcnt(6)
	v_mul_f16_sdwa v2, v13, v1 dst_sel:DWORD dst_unused:UNUSED_PAD src0_sel:WORD_1 src1_sel:DWORD
	v_mul_f16_sdwa v3, v13, v12 dst_sel:DWORD dst_unused:UNUSED_PAD src0_sel:WORD_1 src1_sel:DWORD
	v_fma_f16 v2, v13, v12, v2
	v_fma_f16 v1, v13, v1, -v3
	v_pack_b32_f16 v1, v2, v1
	v_add_u32_e32 v2, 0x400, v31
	ds_write2_b32 v2, v0, v1 offset0:108 offset1:199
	s_waitcnt vmcnt(5)
	v_lshrrev_b32_e32 v0, 16, v14
	s_waitcnt vmcnt(4)
	v_mul_f16_sdwa v1, v15, v0 dst_sel:DWORD dst_unused:UNUSED_PAD src0_sel:WORD_1 src1_sel:DWORD
	v_mul_f16_sdwa v2, v15, v14 dst_sel:DWORD dst_unused:UNUSED_PAD src0_sel:WORD_1 src1_sel:DWORD
	v_fma_f16 v1, v15, v14, v1
	v_fma_f16 v0, v15, v0, -v2
	v_pack_b32_f16 v0, v1, v0
	s_waitcnt vmcnt(3)
	v_lshrrev_b32_e32 v1, 16, v17
	s_waitcnt vmcnt(2)
	v_mul_f16_sdwa v2, v18, v1 dst_sel:DWORD dst_unused:UNUSED_PAD src0_sel:WORD_1 src1_sel:DWORD
	v_mul_f16_sdwa v3, v18, v17 dst_sel:DWORD dst_unused:UNUSED_PAD src0_sel:WORD_1 src1_sel:DWORD
	v_fma_f16 v2, v18, v17, v2
	v_fma_f16 v1, v18, v1, -v3
	v_pack_b32_f16 v1, v2, v1
	v_add_u32_e32 v2, 0x800, v31
	ds_write2_b32 v2, v0, v1 offset0:34 offset1:125
	s_waitcnt vmcnt(1)
	v_lshrrev_b32_e32 v0, 16, v19
	s_waitcnt vmcnt(0)
	v_mul_f16_sdwa v1, v20, v0 dst_sel:DWORD dst_unused:UNUSED_PAD src0_sel:WORD_1 src1_sel:DWORD
	v_mul_f16_sdwa v2, v20, v19 dst_sel:DWORD dst_unused:UNUSED_PAD src0_sel:WORD_1 src1_sel:DWORD
	v_fma_f16 v1, v20, v19, v1
	v_fma_f16 v0, v20, v0, -v2
	v_pack_b32_f16 v0, v1, v0
	ds_write_b32 v31, v0 offset:2912
.LBB0_3:
	s_or_b64 exec, exec, s[8:9]
	s_load_dwordx2 s[0:1], s[4:5], 0x20
	s_load_dwordx2 s[2:3], s[4:5], 0x8
	v_mov_b32_e32 v1, 0
	v_mov_b32_e32 v6, 0
	v_mov_b32_e32 v7, 0
	v_mov_b32_e32 v2, 0
	s_waitcnt lgkmcnt(0)
	s_barrier
	s_waitcnt lgkmcnt(0)
                                        ; implicit-def: $vgpr5
                                        ; implicit-def: $vgpr12
	s_and_saveexec_b64 s[4:5], vcc
	s_cbranch_execz .LBB0_5
; %bb.4:
	v_add_u32_e32 v2, 0x400, v31
	v_add_u32_e32 v4, 0x800, v31
	;; [unrolled: 1-line block ×3, first 2 shown]
	ds_read2_b32 v[0:1], v31 offset1:91
	ds_read2_b32 v[2:3], v2 offset0:108 offset1:199
	ds_read2_b32 v[4:5], v4 offset0:34 offset1:125
	ds_read_b32 v12, v31 offset:2912
	ds_read2_b32 v[6:7], v6 offset0:54 offset1:145
.LBB0_5:
	s_or_b64 exec, exec, s[4:5]
	s_waitcnt lgkmcnt(0)
	v_alignbit_b32 v11, v6, v1, 16
	v_alignbit_b32 v13, v5, v12, 16
	v_pk_add_f16 v8, v12, v1
	v_pk_add_f16 v10, v5, v6
	;; [unrolled: 1-line block ×3, first 2 shown]
	v_pk_add_f16 v11, v11, v13 neg_lo:[0,1] neg_hi:[0,1]
	v_alignbit_b32 v1, v1, v6, 16
	v_alignbit_b32 v5, v12, v5, 16
	v_pk_add_f16 v4, v7, v4 neg_lo:[0,1] neg_hi:[0,1]
	s_movk_i32 s8, 0x3aee
	s_mov_b32 s4, 0x3be13924
	v_pk_add_f16 v1, v1, v5 neg_lo:[0,1] neg_hi:[0,1]
	v_pk_mul_f16 v12, v4, s8 op_sel_hi:[1,0]
	v_pk_mul_f16 v4, v11, s4
	s_mov_b32 s4, 0x39243be1
	v_pk_fma_f16 v4, v1, s4, v4
	v_pk_add_f16 v5, v2, v3 neg_lo:[0,1] neg_hi:[0,1]
	s_movk_i32 s10, 0x3579
	v_pk_add_f16 v4, v4, v12 op_sel:[0,1] op_sel_hi:[1,0]
	v_pk_mul_f16 v6, v5, s10 op_sel_hi:[1,0]
	s_movk_i32 s11, 0x3a21
	v_pk_add_f16 v6, v4, v6 op_sel:[0,1] op_sel_hi:[1,0]
	v_pk_fma_f16 v4, v8, s11, v0 op_sel_hi:[1,0,1]
	s_movk_i32 s14, 0x318f
	v_pk_fma_f16 v4, v10, s14, v4 op_sel_hi:[1,0,1]
	v_pk_fma_f16 v7, v9, 0.5, v4 op_sel_hi:[1,0,1] neg_lo:[1,0,0] neg_hi:[1,0,0]
	v_pk_add_f16 v4, v3, v2
	s_movk_i32 s4, 0x3b84
	v_pk_fma_f16 v7, v4, s4, v7 op_sel_hi:[1,0,1] neg_lo:[1,0,0] neg_hi:[1,0,0]
	v_pk_add_f16 v13, v7, v6
	v_pk_add_f16 v14, v7, v6 neg_lo:[0,1] neg_hi:[0,1]
	v_lshrrev_b32_e32 v7, 16, v6
	v_fma_f16 v19, v6, -2.0, v13
	v_lshrrev_b32_e32 v6, 16, v14
	s_movk_i32 s5, 0x3924
	s_mov_b32 s9, 0xffff
	v_fma_f16 v35, v7, 2.0, v6
	v_pk_mul_f16 v6, v5, s5 op_sel_hi:[1,0]
	v_bfi_b32 v7, s9, v11, v1
	s_movk_i32 s15, 0x3be1
	v_pk_fma_f16 v6, v7, s15, v6 op_sel:[0,0,1] op_sel_hi:[1,0,0] neg_lo:[0,0,1] neg_hi:[0,0,1]
	v_pk_add_f16 v6, v6, v12 op_sel:[0,1] op_sel_hi:[1,0] neg_lo:[0,1] neg_hi:[0,1]
	v_bfi_b32 v7, s9, v1, v11
	v_pk_fma_f16 v15, v7, s10, v6 op_sel_hi:[1,0,1]
	v_pk_fma_f16 v6, v4, s11, v0 op_sel_hi:[1,0,1]
	v_pk_fma_f16 v6, v8, s14, v6 op_sel_hi:[1,0,1]
	v_pk_fma_f16 v6, v9, 0.5, v6 op_sel_hi:[1,0,1] neg_lo:[1,0,0] neg_hi:[1,0,0]
	v_pk_fma_f16 v7, v10, s4, v6 op_sel_hi:[1,0,1] neg_lo:[1,0,0] neg_hi:[1,0,0]
	v_pk_add_f16 v6, v7, v15
	v_pk_add_f16 v7, v7, v15 neg_lo:[0,1] neg_hi:[0,1]
	v_lshrrev_b32_e32 v17, 16, v15
	v_fma_f16 v22, v15, -2.0, v6
	v_lshrrev_b32_e32 v15, 16, v7
	v_fma_f16 v36, v17, 2.0, v15
	v_mul_lo_u16_e32 v33, 9, v32
	s_barrier
	s_and_saveexec_b64 s[4:5], vcc
	s_cbranch_execz .LBB0_7
; %bb.6:
	v_bfi_b32 v13, s9, v13, v14
	v_mul_f16_sdwa v14, v5, s15 dst_sel:DWORD dst_unused:UNUSED_PAD src0_sel:WORD_1 src1_sel:DWORD
	s_mov_b32 s15, 0xb924
	v_lshrrev_b32_e32 v18, 16, v11
	v_mul_f16_e32 v20, 0x3be1, v5
	v_fma_f16 v14, v1, s15, -v14
	v_fma_f16 v20, v18, s15, -v20
	v_add_f16_sdwa v14, v12, v14 dst_sel:DWORD dst_unused:UNUSED_PAD src0_sel:WORD_1 src1_sel:DWORD
	v_fma_f16 v17, v10, s11, v0
	v_add_f16_e32 v12, v12, v20
	v_lshrrev_b32_e32 v20, 16, v10
	v_lshrrev_b32_e32 v21, 16, v0
	v_pk_mul_f16 v15, v9, 0.5 op_sel_hi:[1,0]
	v_fma_f16 v17, v4, s14, v17
	v_fma_f16 v20, v20, s11, v21
	v_lshrrev_b32_e32 v21, 16, v4
	v_sub_f16_e32 v17, v17, v15
	s_mov_b32 s16, 0xbb84
	v_fma_f16 v20, v21, s14, v20
	v_fma_f16 v17, v8, s16, v17
	v_sub_f16_sdwa v15, v20, v15 dst_sel:DWORD dst_unused:UNUSED_PAD src0_sel:DWORD src1_sel:WORD_1
	v_lshrrev_b32_e32 v20, 16, v8
	v_pk_add_f16 v8, v8, v10
	v_fma_f16 v15, v20, s16, v15
	v_pk_add_f16 v20, v0, v9
	v_pk_add_f16 v9, v8, v9
	;; [unrolled: 1-line block ×4, first 2 shown]
	v_fma_f16 v14, v11, s10, v14
	v_lshrrev_b32_e32 v21, 16, v1
	v_add_f16_sdwa v11, v11, v5 dst_sel:DWORD dst_unused:UNUSED_PAD src0_sel:DWORD src1_sel:WORD_1
	v_pk_add_f16 v0, v0, v2
	v_pk_add_f16 v2, v8, v4
	v_fma_f16 v12, v21, s10, v12
	v_sub_f16_e32 v1, v11, v1
	v_add_f16_e32 v5, v21, v5
	v_lshrrev_b32_e32 v21, 16, v20
	v_fma_f16 v3, v2, -0.5, v20
	v_lshrrev_b32_e32 v2, 16, v2
	v_mul_f16_e32 v11, 0x3aee, v1
	v_sub_f16_e32 v5, v5, v18
	v_fma_f16 v1, v1, s8, v3
	v_fma_f16 v2, v2, -0.5, v21
	s_mov_b32 s8, 0xbaee
	v_add_f16_e32 v17, v17, v14
	v_sub_f16_e32 v15, v15, v12
	v_lshlrev_b32_e32 v10, 2, v33
	v_fma_f16 v2, v5, s8, v2
	v_fma_f16 v14, v14, -2.0, v17
	v_fma_f16 v12, v12, 2.0, v15
	v_mul_f16_e32 v18, 0x3aee, v5
	v_fma_f16 v3, v11, -2.0, v1
	ds_write2_b32 v10, v0, v13 offset1:1
	v_pack_b32_f16 v0, v1, v2
	v_bfi_b32 v1, s9, v6, v7
	v_fma_f16 v4, v18, 2.0, v2
	ds_write2_b32 v10, v1, v0 offset0:2 offset1:3
	v_pack_b32_f16 v0, v17, v15
	v_pack_b32_f16 v1, v14, v12
	s_mov_b32 s8, 0x5040100
	ds_write2_b32 v10, v0, v1 offset0:4 offset1:5
	v_pack_b32_f16 v0, v3, v4
	v_perm_b32 v1, v36, v22, s8
	ds_write2_b32 v10, v0, v1 offset0:6 offset1:7
	v_perm_b32 v0, v35, v19, s8
	ds_write_b32 v10, v0 offset:32
.LBB0_7:
	s_or_b64 exec, exec, s[4:5]
	v_mov_b32_e32 v0, 57
	v_mul_lo_u16_sdwa v0, v32, v0 dst_sel:DWORD dst_unused:UNUSED_PAD src0_sel:BYTE_0 src1_sel:DWORD
	v_lshrrev_b16_e32 v12, 9, v0
	v_mul_lo_u16_e32 v0, 9, v12
	v_sub_u16_e32 v0, v32, v0
	v_and_b32_e32 v13, 0xff, v0
	v_mul_u32_u24_e32 v0, 6, v13
	v_lshlrev_b32_e32 v4, 2, v0
	s_load_dwordx4 s[8:11], s[0:1], 0x0
	s_waitcnt lgkmcnt(0)
	s_barrier
	global_load_dwordx4 v[0:3], v4, s[2:3]
	global_load_dwordx2 v[17:18], v4, s[2:3] offset:16
	v_add_u32_e32 v5, 0x200, v31
	v_add_u32_e32 v4, 0x600, v31
	ds_read2_b32 v[6:7], v31 offset1:117
	ds_read_b32 v14, v31 offset:2808
	ds_read2_b32 v[8:9], v5 offset0:106 offset1:223
	ds_read2_b32 v[10:11], v4 offset0:84 offset1:201
	s_movk_i32 s4, 0x39e0
	s_waitcnt lgkmcnt(3)
	v_lshrrev_b32_e32 v15, 16, v7
	s_waitcnt lgkmcnt(2)
	v_lshrrev_b32_e32 v20, 16, v14
	;; [unrolled: 2-line block ×3, first 2 shown]
	v_lshrrev_b32_e32 v23, 16, v9
	s_waitcnt lgkmcnt(0)
	v_lshrrev_b32_e32 v24, 16, v10
	v_lshrrev_b32_e32 v25, 16, v11
	s_mov_b32 s5, 0xb9e0
	s_movk_i32 s16, 0x2b26
	s_movk_i32 s0, 0x3b00
	s_mov_b32 s1, 0xbcab
	s_mov_b32 s14, 0xb574
	s_movk_i32 s17, 0x3574
	s_movk_i32 s15, 0x370e
	s_waitcnt vmcnt(0)
	s_barrier
	s_waitcnt lgkmcnt(0)
                                        ; implicit-def: $vgpr45
                                        ; implicit-def: $vgpr46
                                        ; implicit-def: $vgpr47
                                        ; implicit-def: $vgpr44
                                        ; implicit-def: $vgpr48
	v_mul_f16_sdwa v26, v21, v1 dst_sel:DWORD dst_unused:UNUSED_PAD src0_sel:DWORD src1_sel:WORD_1
	v_mul_f16_sdwa v27, v8, v1 dst_sel:DWORD dst_unused:UNUSED_PAD src0_sel:DWORD src1_sel:WORD_1
	;; [unrolled: 1-line block ×12, first 2 shown]
	v_fma_f16 v8, v8, v1, -v26
	v_fma_f16 v9, v9, v2, -v28
	;; [unrolled: 1-line block ×4, first 2 shown]
	v_fma_f16 v30, v21, v1, v27
	v_fma_f16 v29, v23, v2, v29
	;; [unrolled: 1-line block ×4, first 2 shown]
	v_fma_f16 v14, v14, v18, -v39
	v_fma_f16 v20, v20, v18, v40
	v_fma_f16 v15, v15, v0, v41
	v_fma_f16 v7, v7, v0, -v42
	v_add_f16_e32 v21, v7, v14
	v_add_f16_e32 v23, v8, v11
	;; [unrolled: 1-line block ×3, first 2 shown]
	v_sub_f16_e32 v25, v15, v20
	v_sub_f16_e32 v26, v30, v37
	;; [unrolled: 1-line block ×3, first 2 shown]
	v_add_f16_e32 v15, v15, v20
	v_sub_f16_e32 v7, v7, v14
	v_add_f16_e32 v14, v30, v37
	v_add_f16_e32 v28, v23, v21
	v_sub_f16_e32 v38, v23, v21
	v_sub_f16_e32 v39, v24, v23
	v_add_f16_e32 v23, v27, v26
	v_sub_f16_e32 v8, v8, v11
	v_add_f16_e32 v11, v29, v34
	;; [unrolled: 2-line block ×3, first 2 shown]
	v_sub_f16_e32 v21, v21, v24
	v_sub_f16_e32 v40, v27, v26
	;; [unrolled: 1-line block ×4, first 2 shown]
	v_add_f16_e32 v24, v24, v28
	v_add_f16_e32 v25, v23, v25
	v_mul_f16_e32 v23, 0x2b26, v39
	v_sub_f16_e32 v20, v14, v15
	v_sub_f16_e32 v15, v15, v11
	;; [unrolled: 1-line block ×3, first 2 shown]
	v_add_f16_e32 v10, v11, v10
	v_add_f16_e32 v11, v9, v8
	v_fma_f16 v41, v38, s4, -v23
	v_add_f16_e32 v23, v6, v24
	v_sub_f16_e32 v29, v9, v8
	v_sub_f16_e32 v9, v7, v9
	;; [unrolled: 1-line block ×3, first 2 shown]
	v_add_f16_e32 v7, v11, v7
	v_add_f16_sdwa v37, v6, v10 dst_sel:DWORD dst_unused:UNUSED_PAD src0_sel:WORD_1 src1_sel:DWORD
	v_mul_f16_e32 v6, 0x3a52, v15
	v_mul_f16_e32 v11, 0x2b26, v14
	;; [unrolled: 1-line block ×5, first 2 shown]
	v_fma_f16 v14, v14, s16, v6
	v_fma_f16 v11, v20, s4, -v11
	v_fma_f16 v6, v20, s5, -v6
	v_mul_f16_e32 v15, 0xb846, v29
	v_mul_f16_e32 v20, 0x3b00, v8
	v_fma_f16 v38, v38, s5, -v21
	v_fma_f16 v40, v27, s14, -v40
	v_fma_f16 v21, v39, s16, v21
	v_fma_f16 v27, v27, s17, v28
	v_fma_f16 v24, v24, s1, v23
	v_fma_f16 v8, v8, s0, -v15
	v_fma_f16 v15, v9, s17, v15
	v_fma_f16 v9, v9, s14, -v20
	v_fma_f16 v10, v10, s1, v37
	;; [unrolled: 2-line block ×3, first 2 shown]
	v_fma_f16 v40, v25, s15, v27
	v_add_f16_e32 v21, v21, v24
	v_add_f16_e32 v14, v14, v10
	;; [unrolled: 1-line block ×4, first 2 shown]
	v_fma_f16 v10, v7, s15, v15
	v_fma_f16 v8, v7, s15, v8
	;; [unrolled: 1-line block ×4, first 2 shown]
	v_add_f16_e32 v27, v41, v24
	v_add_f16_e32 v38, v38, v24
	v_add_f16_e32 v24, v40, v21
	v_sub_f16_e32 v21, v21, v40
	v_sub_f16_e32 v42, v6, v7
	v_add_f16_e32 v40, v7, v6
	v_sub_f16_e32 v43, v14, v10
	v_mul_u32_u24_e32 v6, 63, v12
	v_add_f16_e32 v25, v39, v38
	v_sub_f16_e32 v26, v27, v28
	v_add_f16_e32 v27, v28, v27
	v_sub_f16_e32 v28, v38, v39
	v_add_f16_e32 v39, v8, v11
	v_add_lshl_u32 v34, v6, v13, 2
	v_pack_b32_f16 v6, v23, v37
	v_pack_b32_f16 v7, v24, v43
	v_sub_f16_e32 v38, v11, v8
	ds_write2_b32 v34, v6, v7 offset1:9
	v_pack_b32_f16 v6, v25, v42
	v_pack_b32_f16 v7, v26, v39
	v_add_f16_e32 v41, v10, v14
	ds_write2_b32 v34, v6, v7 offset0:18 offset1:27
	v_pack_b32_f16 v6, v27, v38
	v_pack_b32_f16 v7, v28, v40
	ds_write2_b32 v34, v6, v7 offset0:36 offset1:45
	v_pack_b32_f16 v6, v21, v41
	v_cmp_gt_u16_e64 s[0:1], 63, v32
	ds_write_b32 v34, v6 offset:216
	s_waitcnt lgkmcnt(0)
	s_barrier
	s_waitcnt lgkmcnt(0)
                                        ; implicit-def: $vgpr29
	s_and_saveexec_b64 s[4:5], s[0:1]
	s_cbranch_execz .LBB0_9
; %bb.8:
	ds_read2_b32 v[23:24], v31 offset1:63
	ds_read2_b32 v[25:26], v31 offset0:126 offset1:189
	ds_read2_b32 v[27:28], v5 offset0:124 offset1:187
	v_add_u32_e32 v5, 0x400, v31
	ds_read2_b32 v[19:20], v4 offset0:120 offset1:183
	v_add_u32_e32 v4, 0x800, v31
	ds_read2_b32 v[21:22], v5 offset0:122 offset1:185
	ds_read2_b32 v[29:30], v4 offset0:118 offset1:181
	ds_read_b32 v44, v31 offset:3024
	s_waitcnt lgkmcnt(6)
	v_lshrrev_b32_e32 v37, 16, v23
	v_lshrrev_b32_e32 v43, 16, v24
	s_waitcnt lgkmcnt(5)
	v_lshrrev_b32_e32 v42, 16, v25
	v_lshrrev_b32_e32 v39, 16, v26
	;; [unrolled: 3-line block ×4, first 2 shown]
	v_lshrrev_b32_e32 v35, 16, v19
	v_lshrrev_b32_e32 v45, 16, v20
	s_waitcnt lgkmcnt(1)
	v_lshrrev_b32_e32 v46, 16, v29
	v_lshrrev_b32_e32 v47, 16, v30
	s_waitcnt lgkmcnt(0)
	v_lshrrev_b32_e32 v48, 16, v44
.LBB0_9:
	s_or_b64 exec, exec, s[4:5]
	v_subrev_u32_e32 v4, 63, v32
	v_cndmask_b32_e64 v4, v4, v32, s[0:1]
	v_mul_hi_i32_i24_e32 v5, 48, v4
	v_mul_i32_i24_e32 v4, 48, v4
	v_mov_b32_e32 v6, s3
	v_add_co_u32_e64 v49, s[2:3], s2, v4
	v_addc_co_u32_e64 v50, s[2:3], v6, v5, s[2:3]
	global_load_dwordx4 v[4:7], v[49:50], off offset:216
	global_load_dwordx4 v[8:11], v[49:50], off offset:232
	;; [unrolled: 1-line block ×3, first 2 shown]
	s_movk_i32 s4, 0x3b15
	s_movk_i32 s5, 0x388b
	;; [unrolled: 1-line block ×3, first 2 shown]
	s_mov_b32 s3, 0xb5ac
	s_mov_b32 s14, 0xb9fd
	;; [unrolled: 1-line block ×3, first 2 shown]
	s_waitcnt vmcnt(2)
	v_mul_f16_sdwa v50, v24, v4 dst_sel:DWORD dst_unused:UNUSED_PAD src0_sel:DWORD src1_sel:WORD_1
	v_mul_f16_sdwa v49, v43, v4 dst_sel:DWORD dst_unused:UNUSED_PAD src0_sel:DWORD src1_sel:WORD_1
	;; [unrolled: 1-line block ×3, first 2 shown]
	s_waitcnt vmcnt(1)
	v_mul_f16_sdwa v59, v41, v9 dst_sel:DWORD dst_unused:UNUSED_PAD src0_sel:DWORD src1_sel:WORD_1
	v_mul_f16_sdwa v60, v21, v9 dst_sel:DWORD dst_unused:UNUSED_PAD src0_sel:DWORD src1_sel:WORD_1
	s_waitcnt vmcnt(0)
	v_mul_f16_sdwa v68, v29, v13 dst_sel:DWORD dst_unused:UNUSED_PAD src0_sel:DWORD src1_sel:WORD_1
	v_fma_f16 v43, v43, v4, v50
	v_mul_f16_sdwa v51, v42, v5 dst_sel:DWORD dst_unused:UNUSED_PAD src0_sel:DWORD src1_sel:WORD_1
	v_mul_f16_sdwa v54, v26, v6 dst_sel:DWORD dst_unused:UNUSED_PAD src0_sel:DWORD src1_sel:WORD_1
	;; [unrolled: 1-line block ×7, first 2 shown]
	v_fma_f16 v49, v24, v4, -v49
	v_fma_f16 v42, v42, v5, v52
	v_fma_f16 v24, v21, v9, -v59
	v_fma_f16 v21, v41, v9, v60
	v_fma_f16 v41, v46, v13, v68
	v_add_f16_e32 v46, v37, v43
	v_mul_f16_sdwa v53, v39, v6 dst_sel:DWORD dst_unused:UNUSED_PAD src0_sel:DWORD src1_sel:WORD_1
	v_mul_f16_sdwa v56, v27, v7 dst_sel:DWORD dst_unused:UNUSED_PAD src0_sel:DWORD src1_sel:WORD_1
	;; [unrolled: 1-line block ×4, first 2 shown]
	v_fma_f16 v50, v25, v5, -v51
	v_fma_f16 v39, v39, v6, v54
	v_fma_f16 v25, v22, v10, -v61
	v_fma_f16 v22, v36, v10, v62
	v_fma_f16 v36, v19, v11, -v63
	v_fma_f16 v19, v44, v15, -v71
	v_add_f16_e32 v44, v23, v49
	v_add_f16_e32 v46, v46, v42
	v_mul_f16_sdwa v55, v38, v7 dst_sel:DWORD dst_unused:UNUSED_PAD src0_sel:DWORD src1_sel:WORD_1
	v_mul_f16_sdwa v58, v28, v8 dst_sel:DWORD dst_unused:UNUSED_PAD src0_sel:DWORD src1_sel:WORD_1
	v_fma_f16 v51, v26, v6, -v53
	v_fma_f16 v38, v38, v7, v56
	v_add_f16_e32 v44, v44, v50
	v_add_f16_e32 v46, v46, v39
	v_mul_f16_sdwa v57, v40, v8 dst_sel:DWORD dst_unused:UNUSED_PAD src0_sel:DWORD src1_sel:WORD_1
	v_fma_f16 v52, v27, v7, -v55
	v_fma_f16 v26, v40, v8, v58
	v_add_f16_e32 v44, v44, v51
	v_add_f16_e32 v46, v46, v38
	v_fma_f16 v27, v28, v8, -v57
	v_add_f16_e32 v44, v44, v52
	v_add_f16_e32 v46, v46, v26
	;; [unrolled: 1-line block ×4, first 2 shown]
	v_mul_f16_sdwa v66, v20, v12 dst_sel:DWORD dst_unused:UNUSED_PAD src0_sel:DWORD src1_sel:WORD_1
	v_fma_f16 v28, v35, v11, v64
	v_add_f16_e32 v44, v44, v24
	v_add_f16_e32 v46, v46, v22
	v_mul_f16_sdwa v65, v45, v12 dst_sel:DWORD dst_unused:UNUSED_PAD src0_sel:DWORD src1_sel:WORD_1
	v_fma_f16 v40, v45, v12, v66
	v_add_f16_e32 v44, v44, v25
	v_add_f16_e32 v46, v46, v28
	v_mul_f16_sdwa v70, v30, v14 dst_sel:DWORD dst_unused:UNUSED_PAD src0_sel:DWORD src1_sel:WORD_1
	v_fma_f16 v20, v20, v12, -v65
	v_add_f16_e32 v44, v44, v36
	v_add_f16_e32 v46, v46, v40
	v_mul_f16_sdwa v69, v47, v14 dst_sel:DWORD dst_unused:UNUSED_PAD src0_sel:DWORD src1_sel:WORD_1
	v_fma_f16 v29, v29, v13, -v67
	v_fma_f16 v45, v47, v14, v70
	v_fma_f16 v35, v48, v15, v72
	v_add_f16_e32 v47, v49, v19
	v_sub_f16_e32 v49, v49, v19
	v_add_f16_e32 v44, v44, v20
	v_add_f16_e32 v46, v46, v41
	v_fma_f16 v30, v30, v14, -v69
	v_add_f16_e32 v48, v43, v35
	v_sub_f16_e32 v43, v43, v35
	v_mul_f16_e32 v54, 0xb770, v49
	v_add_f16_e32 v44, v44, v29
	v_add_f16_e32 v46, v46, v45
	v_mul_f16_e32 v53, 0xb770, v43
	v_fma_f16 v56, v48, s4, v54
	v_fma_f16 v54, v48, s4, -v54
	v_add_f16_e32 v44, v44, v30
	v_add_f16_e32 v35, v46, v35
	v_mul_f16_e32 v46, 0xba95, v43
	v_mul_f16_e32 v59, 0xbbf1, v43
	;; [unrolled: 1-line block ×5, first 2 shown]
	v_fma_f16 v55, v47, s4, -v53
	v_fma_f16 v53, v47, s4, v53
	v_add_f16_e32 v19, v44, v19
	v_add_f16_e32 v44, v37, v54
	v_fma_f16 v54, v47, s5, -v46
	v_mul_f16_e32 v57, 0xba95, v49
	v_fma_f16 v46, v47, s5, v46
	v_fma_f16 v60, v47, s2, -v59
	v_mul_f16_e32 v61, 0xbbf1, v49
	v_fma_f16 v59, v47, s2, v59
	;; [unrolled: 3-line block ×5, first 2 shown]
	v_add_f16_e32 v55, v23, v55
	v_add_f16_e32 v53, v23, v53
	;; [unrolled: 1-line block ×3, first 2 shown]
	v_fma_f16 v58, v48, s5, v57
	v_add_f16_e32 v46, v23, v46
	v_fma_f16 v57, v48, s5, -v57
	v_add_f16_e32 v60, v23, v60
	v_fma_f16 v62, v48, s2, v61
	v_add_f16_e32 v59, v23, v59
	v_fma_f16 v61, v48, s2, -v61
	v_add_f16_e32 v64, v23, v64
	;; [unrolled: 4-line block ×5, first 2 shown]
	v_add_f16_e32 v58, v37, v58
	v_add_f16_e32 v57, v37, v57
	;; [unrolled: 1-line block ×11, first 2 shown]
	v_sub_f16_e32 v30, v50, v30
	v_add_f16_e32 v47, v42, v45
	v_sub_f16_e32 v42, v42, v45
	v_mul_f16_e32 v49, 0xba95, v30
	v_mul_f16_e32 v45, 0xba95, v42
	v_fma_f16 v50, v47, s5, v49
	v_fma_f16 v49, v47, s5, -v49
	v_fma_f16 v48, v43, s5, -v45
	v_fma_f16 v45, v43, s5, v45
	v_add_f16_e32 v44, v49, v44
	v_mul_f16_e32 v49, 0xbb7b, v42
	v_add_f16_e32 v45, v45, v53
	v_fma_f16 v53, v43, s3, -v49
	v_add_f16_e32 v53, v53, v54
	v_mul_f16_e32 v54, 0xbb7b, v30
	v_fma_f16 v49, v43, s3, v49
	v_add_f16_e32 v48, v48, v55
	v_fma_f16 v55, v47, s3, v54
	v_add_f16_e32 v46, v49, v46
	v_fma_f16 v49, v47, s3, -v54
	v_mul_f16_e32 v54, 0xb3a8, v42
	v_add_f16_e32 v50, v50, v56
	v_fma_f16 v56, v43, s15, -v54
	v_fma_f16 v54, v43, s15, v54
	v_add_f16_e32 v49, v49, v57
	v_mul_f16_e32 v57, 0xb3a8, v30
	v_add_f16_e32 v54, v54, v59
	v_mul_f16_e32 v59, 0x394e, v42
	v_add_f16_e32 v55, v55, v58
	v_add_f16_e32 v56, v56, v60
	v_fma_f16 v58, v47, s15, v57
	v_fma_f16 v57, v47, s15, -v57
	v_fma_f16 v60, v43, s14, -v59
	v_fma_f16 v59, v43, s14, v59
	v_add_f16_e32 v57, v57, v61
	v_mul_f16_e32 v61, 0x394e, v30
	v_add_f16_e32 v59, v59, v63
	v_mul_f16_e32 v63, 0x3bf1, v42
	v_add_f16_e32 v58, v58, v62
	v_add_f16_e32 v60, v60, v64
	v_fma_f16 v62, v47, s14, v61
	v_fma_f16 v61, v47, s14, -v61
	v_fma_f16 v64, v43, s2, -v63
	v_fma_f16 v63, v43, s2, v63
	v_mul_f16_e32 v42, 0x3770, v42
	v_add_f16_e32 v61, v61, v65
	v_mul_f16_e32 v65, 0x3bf1, v30
	v_add_f16_e32 v63, v63, v67
	v_fma_f16 v67, v43, s4, -v42
	v_mul_f16_e32 v30, 0x3770, v30
	v_fma_f16 v42, v43, s4, v42
	v_add_f16_e32 v64, v64, v68
	v_fma_f16 v68, v47, s4, v30
	v_add_f16_e32 v23, v42, v23
	v_fma_f16 v30, v47, s4, -v30
	v_add_f16_e32 v42, v39, v41
	v_sub_f16_e32 v39, v39, v41
	v_add_f16_e32 v30, v30, v37
	v_add_f16_e32 v37, v51, v29
	v_sub_f16_e32 v29, v51, v29
	v_mul_f16_e32 v41, 0xbbf1, v39
	v_add_f16_e32 v62, v62, v66
	v_fma_f16 v66, v47, s2, v65
	v_fma_f16 v65, v47, s2, -v65
	v_fma_f16 v43, v37, s2, -v41
	v_mul_f16_e32 v47, 0xbbf1, v29
	v_fma_f16 v41, v37, s2, v41
	v_add_f16_e32 v41, v41, v45
	v_fma_f16 v45, v42, s2, -v47
	v_add_f16_e32 v43, v43, v48
	v_fma_f16 v48, v42, s2, v47
	v_add_f16_e32 v44, v45, v44
	v_mul_f16_e32 v45, 0xb3a8, v39
	v_add_f16_e32 v48, v48, v50
	v_fma_f16 v47, v37, s15, -v45
	v_mul_f16_e32 v50, 0xb3a8, v29
	v_fma_f16 v45, v37, s15, v45
	v_add_f16_e32 v45, v45, v46
	v_fma_f16 v46, v42, s15, -v50
	v_add_f16_e32 v46, v46, v49
	v_mul_f16_e32 v49, 0x3b7b, v39
	v_fma_f16 v51, v42, s15, v50
	v_fma_f16 v50, v37, s3, -v49
	v_fma_f16 v49, v37, s3, v49
	v_add_f16_e32 v47, v47, v53
	v_mul_f16_e32 v53, 0x3b7b, v29
	v_add_f16_e32 v49, v49, v54
	v_mul_f16_e32 v54, 0x3770, v39
	v_add_f16_e32 v51, v51, v55
	v_add_f16_e32 v50, v50, v56
	v_fma_f16 v55, v42, s3, v53
	v_fma_f16 v53, v42, s3, -v53
	v_fma_f16 v56, v37, s4, -v54
	v_fma_f16 v54, v37, s4, v54
	v_add_f16_e32 v53, v53, v57
	v_mul_f16_e32 v57, 0x3770, v29
	v_add_f16_e32 v54, v54, v59
	v_mul_f16_e32 v59, 0xba95, v39
	v_add_f16_e32 v55, v55, v58
	v_add_f16_e32 v56, v56, v60
	v_fma_f16 v58, v42, s4, v57
	v_fma_f16 v57, v42, s4, -v57
	v_fma_f16 v60, v37, s5, -v59
	v_fma_f16 v59, v37, s5, v59
	v_mul_f16_e32 v39, 0xb94e, v39
	v_add_f16_e32 v57, v57, v61
	v_mul_f16_e32 v61, 0xba95, v29
	v_add_f16_e32 v59, v59, v63
	v_fma_f16 v63, v37, s14, -v39
	v_mul_f16_e32 v29, 0xb94e, v29
	v_fma_f16 v37, v37, s14, v39
	v_add_f16_e32 v60, v60, v64
	v_fma_f16 v64, v42, s14, v29
	v_add_f16_e32 v23, v37, v23
	v_fma_f16 v29, v42, s14, -v29
	v_add_f16_e32 v37, v38, v40
	v_sub_f16_e32 v38, v38, v40
	v_add_f16_e32 v29, v29, v30
	v_add_f16_e32 v30, v52, v20
	v_sub_f16_e32 v20, v52, v20
	v_mul_f16_e32 v39, 0xbb7b, v38
	v_add_f16_e32 v58, v58, v62
	v_fma_f16 v62, v42, s5, v61
	v_fma_f16 v61, v42, s5, -v61
	v_fma_f16 v40, v30, s3, -v39
	v_mul_f16_e32 v42, 0xbb7b, v20
	v_fma_f16 v39, v30, s3, v39
	v_add_f16_e32 v40, v40, v43
	v_fma_f16 v43, v37, s3, v42
	v_add_f16_e32 v39, v39, v41
	v_fma_f16 v41, v37, s3, -v42
	v_mul_f16_e32 v42, 0x394e, v38
	v_add_f16_e32 v41, v41, v44
	v_fma_f16 v44, v30, s14, -v42
	v_add_f16_e32 v44, v44, v47
	v_mul_f16_e32 v47, 0x394e, v20
	v_fma_f16 v42, v30, s14, v42
	v_add_f16_e32 v42, v42, v45
	v_fma_f16 v45, v37, s14, -v47
	v_add_f16_e32 v45, v45, v46
	v_mul_f16_e32 v46, 0x3770, v38
	v_add_f16_e32 v43, v43, v48
	v_fma_f16 v48, v37, s14, v47
	v_fma_f16 v47, v30, s4, -v46
	v_add_f16_e32 v47, v47, v50
	v_mul_f16_e32 v50, 0x3770, v20
	v_fma_f16 v46, v30, s4, v46
	v_add_f16_e32 v48, v48, v51
	v_fma_f16 v51, v37, s4, v50
	v_add_f16_e32 v46, v46, v49
	v_fma_f16 v49, v37, s4, -v50
	v_mul_f16_e32 v50, 0xbbf1, v38
	v_add_f16_e32 v49, v49, v53
	v_fma_f16 v52, v30, s2, -v50
	v_mul_f16_e32 v53, 0xbbf1, v20
	v_fma_f16 v50, v30, s2, v50
	v_add_f16_e32 v51, v51, v55
	v_fma_f16 v55, v37, s2, v53
	v_add_f16_e32 v50, v50, v54
	v_fma_f16 v53, v37, s2, -v53
	v_mul_f16_e32 v54, 0x33a8, v38
	v_add_f16_e32 v52, v52, v56
	v_add_f16_e32 v53, v53, v57
	v_fma_f16 v56, v30, s15, -v54
	v_mul_f16_e32 v57, 0x33a8, v20
	v_fma_f16 v54, v30, s15, v54
	v_mul_f16_e32 v38, 0x3a95, v38
	v_mul_f16_e32 v20, 0x3a95, v20
	v_add_f16_e32 v56, v56, v60
	v_add_f16_e32 v54, v54, v59
	v_fma_f16 v59, v30, s5, -v38
	v_fma_f16 v60, v37, s5, v20
	v_fma_f16 v30, v30, s5, v38
	v_fma_f16 v20, v37, s5, -v20
	v_add_f16_e32 v23, v30, v23
	v_add_f16_e32 v20, v20, v29
	;; [unrolled: 1-line block ×4, first 2 shown]
	v_sub_f16_e32 v27, v27, v36
	v_sub_f16_e32 v26, v26, v28
	v_add_f16_e32 v55, v55, v58
	v_fma_f16 v58, v37, s15, v57
	v_fma_f16 v57, v37, s15, -v57
	v_mul_f16_e32 v28, 0xb94e, v26
	v_mul_f16_e32 v37, 0xb94e, v27
	v_fma_f16 v36, v29, s14, -v28
	v_fma_f16 v38, v30, s14, v37
	v_fma_f16 v28, v29, s14, v28
	v_fma_f16 v37, v30, s14, -v37
	v_add_f16_e32 v28, v28, v39
	v_add_f16_e32 v37, v37, v41
	v_mul_f16_e32 v39, 0x3bf1, v26
	v_mul_f16_e32 v41, 0x3bf1, v27
	v_add_f16_e32 v36, v36, v40
	v_add_f16_e32 v38, v38, v43
	v_fma_f16 v40, v29, s2, -v39
	v_fma_f16 v43, v30, s2, v41
	v_fma_f16 v39, v29, s2, v39
	v_fma_f16 v41, v30, s2, -v41
	v_add_f16_e32 v39, v39, v42
	v_add_f16_e32 v42, v41, v45
	v_mul_f16_e32 v41, 0xba95, v26
	v_add_f16_e32 v40, v40, v44
	v_fma_f16 v44, v29, s5, -v41
	v_mul_f16_e32 v45, 0xba95, v27
	v_fma_f16 v41, v29, s5, v41
	v_add_f16_e32 v46, v41, v46
	v_fma_f16 v41, v30, s5, -v45
	v_add_f16_e32 v44, v44, v47
	v_fma_f16 v47, v30, s5, v45
	v_add_f16_e32 v45, v41, v49
	v_mul_f16_e32 v41, 0x33a8, v26
	v_add_f16_e32 v43, v43, v48
	v_fma_f16 v48, v29, s15, -v41
	v_mul_f16_e32 v49, 0x33a8, v27
	v_fma_f16 v41, v29, s15, v41
	v_add_f16_e32 v50, v41, v50
	v_fma_f16 v41, v30, s15, -v49
	v_add_f16_e32 v65, v65, v69
	v_add_f16_e32 v47, v47, v51
	v_fma_f16 v51, v30, s15, v49
	v_add_f16_e32 v49, v41, v53
	v_mul_f16_e32 v41, 0x3770, v26
	v_add_f16_e32 v67, v67, v71
	v_add_f16_e32 v61, v61, v65
	;; [unrolled: 1-line block ×3, first 2 shown]
	v_fma_f16 v52, v29, s4, -v41
	v_mul_f16_e32 v53, 0x3770, v27
	v_fma_f16 v41, v29, s4, v41
	v_add_f16_e32 v66, v66, v70
	v_add_f16_e32 v68, v68, v72
	;; [unrolled: 1-line block ×5, first 2 shown]
	v_fma_f16 v41, v30, s4, -v53
	v_mul_f16_e32 v26, 0xbb7b, v26
	v_add_f16_e32 v62, v62, v66
	v_add_f16_e32 v64, v64, v68
	;; [unrolled: 1-line block ×4, first 2 shown]
	v_fma_f16 v55, v30, s4, v53
	v_add_f16_e32 v53, v41, v57
	v_fma_f16 v41, v29, s3, -v26
	v_mul_f16_e32 v27, 0xbb7b, v27
	v_add_f16_e32 v58, v58, v62
	v_add_f16_e32 v60, v60, v64
	;; [unrolled: 1-line block ×4, first 2 shown]
	v_fma_f16 v41, v30, s3, v27
	v_fma_f16 v26, v29, s3, v26
	v_sub_f16_e32 v29, v21, v22
	v_add_f16_e32 v55, v55, v58
	v_add_f16_e32 v57, v41, v60
	;; [unrolled: 1-line block ×3, first 2 shown]
	v_fma_f16 v23, v30, s3, -v27
	v_add_f16_e32 v30, v24, v25
	v_add_f16_e32 v60, v21, v22
	v_sub_f16_e32 v61, v24, v25
	v_mul_f16_e32 v21, 0xb3a8, v29
	v_add_f16_e32 v59, v23, v20
	v_fma_f16 v20, v30, s15, -v21
	v_mul_f16_e32 v22, 0xb3a8, v61
	v_fma_f16 v21, v30, s15, v21
	v_add_f16_e32 v20, v20, v36
	v_add_f16_e32 v36, v21, v28
	v_fma_f16 v21, v60, s15, -v22
	v_add_f16_e32 v37, v21, v37
	v_mul_f16_e32 v21, 0x3770, v29
	v_fma_f16 v23, v60, s15, v22
	v_fma_f16 v22, v30, s4, -v21
	v_mul_f16_e32 v24, 0x3770, v61
	v_add_f16_e32 v25, v22, v40
	v_fma_f16 v22, v60, s4, v24
	v_fma_f16 v21, v30, s4, v21
	v_add_f16_e32 v41, v22, v43
	v_add_f16_e32 v22, v21, v39
	v_fma_f16 v21, v60, s4, -v24
	v_add_f16_e32 v23, v23, v38
	v_add_f16_e32 v38, v21, v42
	v_mul_f16_e32 v21, 0xb94e, v29
	v_fma_f16 v24, v30, s14, -v21
	v_add_f16_e32 v26, v24, v44
	v_mul_f16_e32 v24, 0xb94e, v61
	v_fma_f16 v27, v60, s14, v24
	v_fma_f16 v24, v60, s14, -v24
	v_add_f16_e32 v39, v24, v45
	v_mul_f16_e32 v24, 0x3a95, v29
	v_mul_f16_e32 v28, 0x3a95, v61
	v_add_f16_e32 v43, v27, v47
	v_fma_f16 v21, v30, s14, v21
	v_fma_f16 v27, v30, s5, -v24
	v_fma_f16 v40, v60, s5, v28
	v_fma_f16 v28, v60, s5, -v28
	v_add_f16_e32 v21, v21, v46
	v_add_f16_e32 v27, v27, v48
	;; [unrolled: 1-line block ×4, first 2 shown]
	v_mul_f16_e32 v45, 0xbb7b, v29
	v_mul_f16_e32 v46, 0xbb7b, v61
	;; [unrolled: 1-line block ×4, first 2 shown]
	v_fma_f16 v24, v30, s5, v24
	v_fma_f16 v28, v30, s3, -v45
	v_fma_f16 v44, v60, s3, v46
	v_fma_f16 v45, v30, s3, v45
	v_fma_f16 v46, v60, s3, -v46
	v_fma_f16 v29, v30, s2, -v48
	v_fma_f16 v47, v60, s2, v49
	v_fma_f16 v30, v30, s2, v48
	v_fma_f16 v48, v60, s2, -v49
	v_add_f16_e32 v24, v24, v50
	v_add_f16_e32 v28, v28, v52
	;; [unrolled: 1-line block ×9, first 2 shown]
	s_and_saveexec_b64 s[2:3], s[0:1]
	s_cbranch_execz .LBB0_11
; %bb.10:
	s_mov_b32 s4, 0x5040100
	v_perm_b32 v49, v35, v19, s4
	v_perm_b32 v50, v23, v20, s4
	ds_write2_b32 v31, v49, v50 offset1:63
	v_perm_b32 v49, v41, v25, s4
	v_perm_b32 v50, v43, v26, s4
	ds_write2_b32 v31, v49, v50 offset0:126 offset1:189
	v_perm_b32 v49, v42, v27, s4
	v_perm_b32 v50, v44, v28, s4
	v_add_u32_e32 v51, 0x200, v31
	ds_write2_b32 v51, v49, v50 offset0:124 offset1:187
	v_perm_b32 v49, v47, v29, s4
	v_perm_b32 v50, v48, v30, s4
	v_add_u32_e32 v51, 0x400, v31
	;; [unrolled: 4-line block ×4, first 2 shown]
	ds_write2_b32 v51, v49, v50 offset0:118 offset1:181
	v_perm_b32 v49, v37, v36, s4
	ds_write_b32 v31, v49 offset:3024
.LBB0_11:
	s_or_b64 exec, exec, s[2:3]
	s_waitcnt lgkmcnt(0)
	s_barrier
	s_and_saveexec_b64 s[2:3], vcc
	s_cbranch_execz .LBB0_13
; %bb.12:
	ds_read_b32 v49, v31
	global_load_dword v51, v31, s[6:7] offset:3276
	s_add_u32 s4, s6, 0xccc
	s_addc_u32 s5, s7, 0
	s_waitcnt lgkmcnt(0)
	v_lshrrev_b32_e32 v50, 16, v49
	s_waitcnt vmcnt(0)
	v_mul_f16_sdwa v52, v50, v51 dst_sel:DWORD dst_unused:UNUSED_PAD src0_sel:DWORD src1_sel:WORD_1
	v_fma_f16 v52, v49, v51, -v52
	v_mul_f16_sdwa v49, v49, v51 dst_sel:DWORD dst_unused:UNUSED_PAD src0_sel:DWORD src1_sel:WORD_1
	v_fma_f16 v49, v50, v51, v49
	v_pack_b32_f16 v49, v52, v49
	global_load_dword v52, v31, s[4:5] offset:364
	ds_write_b32 v31, v49
	ds_read2_b32 v[49:50], v31 offset0:91 offset1:182
	s_waitcnt lgkmcnt(0)
	v_lshrrev_b32_e32 v51, 16, v49
	s_waitcnt vmcnt(0)
	v_mul_f16_sdwa v53, v51, v52 dst_sel:DWORD dst_unused:UNUSED_PAD src0_sel:DWORD src1_sel:WORD_1
	v_fma_f16 v53, v49, v52, -v53
	v_mul_f16_sdwa v49, v49, v52 dst_sel:DWORD dst_unused:UNUSED_PAD src0_sel:DWORD src1_sel:WORD_1
	v_fma_f16 v49, v51, v52, v49
	global_load_dword v52, v31, s[4:5] offset:728
	v_lshrrev_b32_e32 v51, 16, v50
	v_pack_b32_f16 v49, v53, v49
	s_waitcnt vmcnt(0)
	v_mul_f16_sdwa v53, v51, v52 dst_sel:DWORD dst_unused:UNUSED_PAD src0_sel:DWORD src1_sel:WORD_1
	v_fma_f16 v53, v50, v52, -v53
	v_mul_f16_sdwa v50, v50, v52 dst_sel:DWORD dst_unused:UNUSED_PAD src0_sel:DWORD src1_sel:WORD_1
	v_fma_f16 v50, v51, v52, v50
	v_pack_b32_f16 v50, v53, v50
	global_load_dword v53, v31, s[4:5] offset:1092
	v_add_u32_e32 v51, 0x400, v31
	ds_write2_b32 v31, v49, v50 offset0:91 offset1:182
	ds_read2_b32 v[49:50], v51 offset0:17 offset1:108
	s_waitcnt lgkmcnt(0)
	v_lshrrev_b32_e32 v52, 16, v49
	s_waitcnt vmcnt(0)
	v_mul_f16_sdwa v54, v52, v53 dst_sel:DWORD dst_unused:UNUSED_PAD src0_sel:DWORD src1_sel:WORD_1
	v_fma_f16 v54, v49, v53, -v54
	v_mul_f16_sdwa v49, v49, v53 dst_sel:DWORD dst_unused:UNUSED_PAD src0_sel:DWORD src1_sel:WORD_1
	v_fma_f16 v49, v52, v53, v49
	global_load_dword v53, v31, s[4:5] offset:1456
	v_lshrrev_b32_e32 v52, 16, v50
	v_pack_b32_f16 v49, v54, v49
	s_waitcnt vmcnt(0)
	v_mul_f16_sdwa v54, v52, v53 dst_sel:DWORD dst_unused:UNUSED_PAD src0_sel:DWORD src1_sel:WORD_1
	v_fma_f16 v54, v50, v53, -v54
	v_mul_f16_sdwa v50, v50, v53 dst_sel:DWORD dst_unused:UNUSED_PAD src0_sel:DWORD src1_sel:WORD_1
	v_fma_f16 v50, v52, v53, v50
	global_load_dword v53, v31, s[4:5] offset:1820
	v_pack_b32_f16 v50, v54, v50
	ds_write2_b32 v51, v49, v50 offset0:17 offset1:108
	v_add_u32_e32 v51, 0x600, v31
	ds_read2_b32 v[49:50], v51 offset0:71 offset1:162
	s_waitcnt lgkmcnt(0)
	v_lshrrev_b32_e32 v52, 16, v49
	s_waitcnt vmcnt(0)
	v_mul_f16_sdwa v54, v52, v53 dst_sel:DWORD dst_unused:UNUSED_PAD src0_sel:DWORD src1_sel:WORD_1
	v_fma_f16 v54, v49, v53, -v54
	v_mul_f16_sdwa v49, v49, v53 dst_sel:DWORD dst_unused:UNUSED_PAD src0_sel:DWORD src1_sel:WORD_1
	v_fma_f16 v49, v52, v53, v49
	global_load_dword v53, v31, s[4:5] offset:2184
	v_lshrrev_b32_e32 v52, 16, v50
	v_pack_b32_f16 v49, v54, v49
	s_waitcnt vmcnt(0)
	v_mul_f16_sdwa v54, v52, v53 dst_sel:DWORD dst_unused:UNUSED_PAD src0_sel:DWORD src1_sel:WORD_1
	v_fma_f16 v54, v50, v53, -v54
	v_mul_f16_sdwa v50, v50, v53 dst_sel:DWORD dst_unused:UNUSED_PAD src0_sel:DWORD src1_sel:WORD_1
	v_fma_f16 v50, v52, v53, v50
	global_load_dword v53, v31, s[4:5] offset:2548
	v_pack_b32_f16 v50, v54, v50
	ds_write2_b32 v51, v49, v50 offset0:71 offset1:162
	v_add_u32_e32 v51, 0x800, v31
	ds_read2_b32 v[49:50], v51 offset0:125 offset1:216
	s_waitcnt lgkmcnt(0)
	v_lshrrev_b32_e32 v52, 16, v49
	s_waitcnt vmcnt(0)
	v_mul_f16_sdwa v54, v52, v53 dst_sel:DWORD dst_unused:UNUSED_PAD src0_sel:DWORD src1_sel:WORD_1
	v_fma_f16 v54, v49, v53, -v54
	v_mul_f16_sdwa v49, v49, v53 dst_sel:DWORD dst_unused:UNUSED_PAD src0_sel:DWORD src1_sel:WORD_1
	v_fma_f16 v49, v52, v53, v49
	global_load_dword v53, v31, s[4:5] offset:2912
	v_lshrrev_b32_e32 v52, 16, v50
	v_pack_b32_f16 v49, v54, v49
	s_waitcnt vmcnt(0)
	v_mul_f16_sdwa v54, v52, v53 dst_sel:DWORD dst_unused:UNUSED_PAD src0_sel:DWORD src1_sel:WORD_1
	v_fma_f16 v54, v50, v53, -v54
	v_mul_f16_sdwa v50, v50, v53 dst_sel:DWORD dst_unused:UNUSED_PAD src0_sel:DWORD src1_sel:WORD_1
	v_fma_f16 v50, v52, v53, v50
	v_pack_b32_f16 v50, v54, v50
	ds_write2_b32 v51, v49, v50 offset0:125 offset1:216
.LBB0_13:
	s_or_b64 exec, exec, s[2:3]
	s_waitcnt lgkmcnt(0)
	s_barrier
	s_and_saveexec_b64 s[2:3], vcc
	s_cbranch_execz .LBB0_15
; %bb.14:
	v_add_u32_e32 v23, 0x200, v31
	v_add_u32_e32 v27, 0x400, v31
	;; [unrolled: 1-line block ×3, first 2 shown]
	ds_read2_b32 v[19:20], v31 offset1:91
	ds_read2_b32 v[25:26], v23 offset0:54 offset1:145
	ds_read2_b32 v[27:28], v27 offset0:108 offset1:199
	;; [unrolled: 1-line block ×3, first 2 shown]
	ds_read_b32 v45, v31 offset:2912
	s_waitcnt lgkmcnt(4)
	v_lshrrev_b32_e32 v35, 16, v19
	v_lshrrev_b32_e32 v23, 16, v20
	s_waitcnt lgkmcnt(3)
	v_lshrrev_b32_e32 v41, 16, v25
	v_lshrrev_b32_e32 v43, 16, v26
	;; [unrolled: 3-line block ×4, first 2 shown]
	s_waitcnt lgkmcnt(0)
	v_lshrrev_b32_e32 v46, 16, v45
.LBB0_15:
	s_or_b64 exec, exec, s[2:3]
	v_add_f16_e32 v51, v45, v20
	v_add_f16_e32 v53, v46, v23
	v_sub_f16_e32 v45, v20, v45
	s_movk_i32 s15, 0x3a21
	v_add_f16_e32 v52, v30, v25
	v_add_f16_e32 v54, v48, v41
	;; [unrolled: 1-line block ×3, first 2 shown]
	v_sub_f16_e32 v46, v23, v46
	v_sub_f16_e32 v25, v25, v30
	;; [unrolled: 1-line block ×3, first 2 shown]
	v_mul_f16_e32 v20, 0x3924, v45
	s_movk_i32 s2, 0x3be1
	v_fma_f16 v29, v53, s15, v35
	s_movk_i32 s16, 0x318f
	v_add_f16_e32 v49, v47, v43
	v_sub_f16_e32 v30, v41, v48
	s_movk_i32 s4, 0x3aee
	v_mul_f16_e32 v23, 0x3924, v46
	v_fma_f16 v20, v25, s2, v20
	v_fma_f16 v26, v51, s15, v19
	;; [unrolled: 1-line block ×3, first 2 shown]
	v_sub_f16_e32 v60, v43, v47
	v_fma_f16 v23, v30, s2, v23
	v_fma_f16 v20, v59, s4, v20
	v_sub_f16_e32 v41, v27, v28
	s_movk_i32 s5, 0x3579
	v_fma_f16 v26, v52, s16, v26
	v_fma_f16 v29, v49, -0.5, v29
	v_add_f16_e32 v55, v44, v42
	s_mov_b32 s17, 0xbb84
	v_fma_f16 v23, v60, s4, v23
	v_sub_f16_e32 v43, v42, v44
	v_fma_f16 v20, v41, s5, v20
	v_fma_f16 v26, v50, -0.5, v26
	v_add_f16_e32 v56, v28, v27
	v_fma_f16 v29, v55, s17, v29
	v_fma_f16 v23, v43, s5, v23
	;; [unrolled: 1-line block ×3, first 2 shown]
	v_add_f16_e32 v48, v20, v29
	v_sub_f16_e32 v47, v26, v23
	v_fma_f16 v29, v20, -2.0, v48
	v_mul_f16_e32 v20, 0x3924, v41
	v_mul_f16_e32 v26, 0x3924, v43
	v_fma_f16 v20, v45, s2, -v20
	v_fma_f16 v26, v46, s2, -v26
	s_mov_b32 s14, 0xbaee
	v_fma_f16 v20, v59, s14, v20
	v_fma_f16 v26, v60, s14, v26
	;; [unrolled: 1-line block ×8, first 2 shown]
	v_fma_f16 v26, v50, -0.5, v26
	v_fma_f16 v57, v49, -0.5, v57
	v_fma_f16 v26, v52, s17, v26
	v_fma_f16 v58, v54, s17, v57
	v_sub_f16_e32 v57, v26, v20
	v_add_f16_e32 v58, v61, v58
	v_fma_f16 v23, v23, 2.0, v47
	v_fma_f16 v20, v20, 2.0, v57
	v_fma_f16 v26, v61, -2.0, v58
	s_barrier
	s_and_saveexec_b64 s[2:3], vcc
	s_cbranch_execz .LBB0_17
; %bb.16:
	v_mul_f16_e32 v63, 0x3be1, v43
	s_mov_b32 s18, 0xb924
	v_mul_f16_e32 v60, 0x3aee, v60
	v_fma_f16 v63, v30, s18, -v63
	v_add_f16_e32 v60, v60, v63
	v_fma_f16 v63, v52, s15, v19
	v_mul_f16_e32 v61, 0.5, v50
	v_fma_f16 v63, v56, s16, v63
	v_sub_f16_e32 v61, v63, v61
	v_mul_f16_e32 v63, 0x3be1, v41
	v_mul_f16_e32 v59, 0x3aee, v59
	v_fma_f16 v63, v25, s18, -v63
	v_add_f16_e32 v59, v59, v63
	v_fma_f16 v63, v54, s15, v35
	v_mul_f16_e32 v62, 0.5, v49
	v_fma_f16 v63, v55, s16, v63
	v_sub_f16_e32 v62, v63, v62
	v_fma_f16 v62, v53, s17, v62
	v_add_f16_e32 v53, v54, v53
	v_add_f16_e32 v54, v49, v53
	;; [unrolled: 1-line block ×5, first 2 shown]
	v_fma_f16 v61, v51, s17, v61
	v_add_f16_e32 v51, v50, v44
	v_add_f16_e32 v27, v27, v51
	;; [unrolled: 1-line block ×6, first 2 shown]
	v_fma_f16 v19, v28, -0.5, v19
	v_add_f16_e32 v28, v43, v46
	v_sub_f16_e32 v28, v28, v30
	v_mul_f16_e32 v30, 0x3aee, v28
	v_fma_f16 v19, v28, s14, v19
	v_add_f16_e32 v42, v35, v42
	v_fma_f16 v28, v30, 2.0, v19
	v_add_f16_e32 v30, v41, v45
	v_add_f16_e32 v35, v49, v35
	;; [unrolled: 1-line block ×3, first 2 shown]
	v_fma_f16 v60, v46, s5, v60
	v_fma_f16 v59, v45, s5, v59
	v_sub_f16_e32 v25, v30, v25
	v_fma_f16 v35, v41, -0.5, v35
	v_sub_f16_e32 v61, v61, v60
	v_add_f16_e32 v62, v59, v62
	v_mul_f16_e32 v30, 0x3aee, v25
	v_fma_f16 v25, v25, s4, v35
	s_mov_b32 s4, 0x5040100
	v_fma_f16 v60, v60, 2.0, v61
	v_fma_f16 v59, v59, -2.0, v62
	v_fma_f16 v30, v30, -2.0, v25
	v_lshlrev_b32_e32 v33, 2, v33
	v_pack_b32_f16 v19, v19, v25
	v_perm_b32 v25, v58, v57, s4
	ds_write2_b32 v33, v25, v19 offset0:2 offset1:3
	v_pack_b32_f16 v19, v61, v62
	v_pack_b32_f16 v25, v60, v59
	ds_write2_b32 v33, v19, v25 offset0:4 offset1:5
	v_pack_b32_f16 v19, v28, v30
	v_perm_b32 v25, v26, v20, s4
	v_perm_b32 v35, v48, v47, s4
	v_pack_b32_f16 v27, v27, v42
	ds_write2_b32 v33, v19, v25 offset0:6 offset1:7
	v_perm_b32 v19, v29, v23, s4
	ds_write2_b32 v33, v27, v35 offset1:1
	ds_write_b32 v33, v19 offset:32
.LBB0_17:
	s_or_b64 exec, exec, s[2:3]
	s_waitcnt lgkmcnt(0)
	s_barrier
	ds_read2_b32 v[27:28], v31 offset1:117
	v_add_u32_e32 v35, 0x200, v31
	ds_read2_b32 v[41:42], v35 offset0:106 offset1:223
	v_add_u32_e32 v30, 0x600, v31
	ds_read2_b32 v[43:44], v30 offset0:84 offset1:201
	s_waitcnt lgkmcnt(2)
	v_lshrrev_b32_e32 v19, 16, v28
	ds_read_b32 v25, v31 offset:2808
	v_mul_f16_sdwa v49, v0, v19 dst_sel:DWORD dst_unused:UNUSED_PAD src0_sel:WORD_1 src1_sel:DWORD
	s_waitcnt lgkmcnt(2)
	v_lshrrev_b32_e32 v33, 16, v41
	v_fma_f16 v49, v0, v28, v49
	v_mul_f16_sdwa v28, v0, v28 dst_sel:DWORD dst_unused:UNUSED_PAD src0_sel:WORD_1 src1_sel:DWORD
	v_lshrrev_b32_e32 v45, 16, v42
	v_fma_f16 v0, v0, v19, -v28
	v_mul_f16_sdwa v19, v1, v33 dst_sel:DWORD dst_unused:UNUSED_PAD src0_sel:WORD_1 src1_sel:DWORD
	v_mul_f16_sdwa v28, v1, v41 dst_sel:DWORD dst_unused:UNUSED_PAD src0_sel:WORD_1 src1_sel:DWORD
	s_waitcnt lgkmcnt(1)
	v_lshrrev_b32_e32 v46, 16, v43
	v_fma_f16 v19, v1, v41, v19
	v_fma_f16 v1, v1, v33, -v28
	v_mul_f16_sdwa v28, v2, v45 dst_sel:DWORD dst_unused:UNUSED_PAD src0_sel:WORD_1 src1_sel:DWORD
	v_mul_f16_sdwa v33, v2, v42 dst_sel:DWORD dst_unused:UNUSED_PAD src0_sel:WORD_1 src1_sel:DWORD
	v_lshrrev_b32_e32 v47, 16, v44
	v_fma_f16 v28, v2, v42, v28
	v_fma_f16 v2, v2, v45, -v33
	v_mul_f16_sdwa v33, v3, v46 dst_sel:DWORD dst_unused:UNUSED_PAD src0_sel:WORD_1 src1_sel:DWORD
	v_mul_f16_sdwa v41, v3, v43 dst_sel:DWORD dst_unused:UNUSED_PAD src0_sel:WORD_1 src1_sel:DWORD
	s_waitcnt lgkmcnt(0)
	v_lshrrev_b32_e32 v48, 16, v25
	v_fma_f16 v33, v3, v43, v33
	v_fma_f16 v3, v3, v46, -v41
	v_mul_f16_sdwa v41, v17, v47 dst_sel:DWORD dst_unused:UNUSED_PAD src0_sel:WORD_1 src1_sel:DWORD
	v_mul_f16_sdwa v42, v17, v44 dst_sel:DWORD dst_unused:UNUSED_PAD src0_sel:WORD_1 src1_sel:DWORD
	v_fma_f16 v41, v17, v44, v41
	v_fma_f16 v17, v17, v47, -v42
	v_mul_f16_sdwa v42, v18, v48 dst_sel:DWORD dst_unused:UNUSED_PAD src0_sel:WORD_1 src1_sel:DWORD
	v_fma_f16 v42, v18, v25, v42
	v_mul_f16_sdwa v25, v18, v25 dst_sel:DWORD dst_unused:UNUSED_PAD src0_sel:WORD_1 src1_sel:DWORD
	v_fma_f16 v18, v18, v48, -v25
	v_add_f16_e32 v25, v49, v42
	v_add_f16_e32 v43, v0, v18
	v_sub_f16_e32 v0, v0, v18
	v_add_f16_e32 v18, v19, v41
	v_add_f16_e32 v44, v1, v17
	v_sub_f16_e32 v19, v19, v41
	v_sub_f16_e32 v1, v1, v17
	v_add_f16_e32 v17, v28, v33
	v_add_f16_e32 v41, v2, v3
	v_sub_f16_e32 v28, v33, v28
	;; [unrolled: 4-line block ×3, first 2 shown]
	v_sub_f16_e32 v45, v18, v25
	v_sub_f16_e32 v46, v44, v43
	v_sub_f16_e32 v47, v25, v17
	v_sub_f16_e32 v43, v43, v41
	v_sub_f16_e32 v18, v17, v18
	v_add_f16_e32 v25, v28, v19
	v_add_f16_e32 v48, v2, v1
	;; [unrolled: 1-line block ×4, first 2 shown]
	v_sub_f16_e32 v44, v41, v44
	v_sub_f16_e32 v49, v28, v19
	;; [unrolled: 1-line block ×7, first 2 shown]
	v_add_f16_e32 v33, v25, v42
	v_add_f16_e32 v41, v48, v0
	;; [unrolled: 1-line block ×3, first 2 shown]
	v_add_f16_sdwa v25, v27, v17 dst_sel:DWORD dst_unused:UNUSED_PAD src0_sel:WORD_1 src1_sel:DWORD
	v_mul_f16_e32 v27, 0x3a52, v47
	v_mul_f16_e32 v42, 0x3a52, v43
	s_movk_i32 s2, 0x2b26
	v_mul_f16_e32 v43, 0x2b26, v18
	v_mul_f16_e32 v47, 0x2b26, v44
	v_fma_f16 v18, v18, s2, v27
	v_fma_f16 v44, v44, s2, v42
	s_movk_i32 s2, 0x39e0
	v_fma_f16 v43, v45, s2, -v43
	v_fma_f16 v47, v46, s2, -v47
	s_mov_b32 s2, 0xb9e0
	v_mul_f16_e32 v48, 0x3846, v49
	v_mul_f16_e32 v49, 0x3846, v50
	v_fma_f16 v27, v45, s2, -v27
	v_fma_f16 v42, v46, s2, -v42
	s_mov_b32 s2, 0xb574
	v_mul_f16_e32 v50, 0xbb00, v19
	v_mul_f16_e32 v51, 0xbb00, v1
	s_mov_b32 s4, 0xbcab
	v_fma_f16 v45, v28, s2, v48
	v_fma_f16 v46, v2, s2, v49
	s_movk_i32 s2, 0x3574
	s_mov_b32 s3, 0xbb00
	v_fma_f16 v3, v3, s4, v0
	v_fma_f16 v17, v17, s4, v25
	v_fma_f16 v28, v28, s2, -v50
	v_fma_f16 v2, v2, s2, -v51
	s_mov_b32 s2, 0xb70e
	v_fma_f16 v19, v19, s3, -v48
	v_fma_f16 v1, v1, s3, -v49
	v_add_f16_e32 v48, v18, v3
	v_add_f16_e32 v44, v44, v17
	v_fma_f16 v45, v33, s2, v45
	v_fma_f16 v46, v41, s2, v46
	v_add_f16_e32 v49, v43, v3
	v_add_f16_e32 v47, v47, v17
	;; [unrolled: 1-line block ×4, first 2 shown]
	v_fma_f16 v19, v33, s2, v19
	v_fma_f16 v50, v41, s2, v1
	;; [unrolled: 1-line block ×4, first 2 shown]
	v_add_f16_e32 v1, v46, v48
	v_sub_f16_e32 v43, v44, v45
	v_add_f16_e32 v17, v51, v3
	v_sub_f16_e32 v42, v27, v28
	v_sub_f16_e32 v18, v49, v50
	v_add_f16_e32 v41, v19, v47
	v_add_f16_e32 v28, v28, v27
	;; [unrolled: 1-line block ×3, first 2 shown]
	v_pack_b32_f16 v44, v0, v25
	v_pack_b32_f16 v45, v1, v43
	v_add_f16_e32 v2, v50, v49
	v_sub_f16_e32 v33, v47, v19
	v_sub_f16_e32 v3, v3, v51
	s_barrier
	ds_write2_b32 v34, v44, v45 offset1:9
	v_pack_b32_f16 v44, v17, v42
	v_pack_b32_f16 v45, v18, v41
	v_sub_f16_e32 v19, v48, v46
	ds_write2_b32 v34, v44, v45 offset0:18 offset1:27
	v_pack_b32_f16 v44, v2, v33
	v_pack_b32_f16 v45, v3, v28
	ds_write2_b32 v34, v44, v45 offset0:36 offset1:45
	v_pack_b32_f16 v44, v19, v27
	ds_write_b32 v34, v44 offset:216
	s_waitcnt lgkmcnt(0)
	s_barrier
	s_and_saveexec_b64 s[2:3], s[0:1]
	s_cbranch_execz .LBB0_19
; %bb.18:
	v_add_u32_e32 v19, 0x400, v31
	v_add_u32_e32 v21, 0x800, v31
	ds_read2_b32 v[0:1], v31 offset1:63
	ds_read2_b32 v[17:18], v31 offset0:126 offset1:189
	ds_read2_b32 v[2:3], v35 offset0:124 offset1:187
	;; [unrolled: 1-line block ×5, first 2 shown]
	ds_read_b32 v36, v31 offset:3024
	s_waitcnt lgkmcnt(6)
	v_lshrrev_b32_e32 v25, 16, v0
	v_lshrrev_b32_e32 v43, 16, v1
	s_waitcnt lgkmcnt(5)
	v_lshrrev_b32_e32 v42, 16, v17
	v_lshrrev_b32_e32 v41, 16, v18
	;; [unrolled: 3-line block ×6, first 2 shown]
	s_waitcnt lgkmcnt(0)
	v_lshrrev_b32_e32 v37, 16, v36
.LBB0_19:
	s_or_b64 exec, exec, s[2:3]
	s_and_saveexec_b64 s[2:3], s[0:1]
	s_cbranch_execz .LBB0_21
; %bb.20:
	v_mul_f16_sdwa v30, v4, v43 dst_sel:DWORD dst_unused:UNUSED_PAD src0_sel:WORD_1 src1_sel:DWORD
	v_mul_f16_sdwa v34, v15, v37 dst_sel:DWORD dst_unused:UNUSED_PAD src0_sel:WORD_1 src1_sel:DWORD
	v_fma_f16 v30, v4, v1, v30
	v_fma_f16 v34, v15, v36, v34
	v_mul_f16_sdwa v36, v15, v36 dst_sel:DWORD dst_unused:UNUSED_PAD src0_sel:WORD_1 src1_sel:DWORD
	v_mul_f16_sdwa v1, v4, v1 dst_sel:DWORD dst_unused:UNUSED_PAD src0_sel:WORD_1 src1_sel:DWORD
	v_fma_f16 v15, v15, v37, -v36
	v_fma_f16 v1, v4, v43, -v1
	v_mul_f16_sdwa v37, v5, v42 dst_sel:DWORD dst_unused:UNUSED_PAD src0_sel:WORD_1 src1_sel:DWORD
	v_mul_f16_sdwa v43, v14, v38 dst_sel:DWORD dst_unused:UNUSED_PAD src0_sel:WORD_1 src1_sel:DWORD
	v_sub_f16_e32 v35, v30, v34
	v_fma_f16 v37, v5, v17, v37
	v_fma_f16 v43, v14, v22, v43
	v_mul_f16_sdwa v22, v14, v22 dst_sel:DWORD dst_unused:UNUSED_PAD src0_sel:WORD_1 src1_sel:DWORD
	v_mul_f16_sdwa v17, v5, v17 dst_sel:DWORD dst_unused:UNUSED_PAD src0_sel:WORD_1 src1_sel:DWORD
	v_mul_f16_e32 v44, 0xb94e, v35
	v_add_f16_e32 v4, v15, v1
	s_mov_b32 s0, 0xb9fd
	v_sub_f16_e32 v45, v37, v43
	v_fma_f16 v14, v14, v38, -v22
	v_fma_f16 v5, v5, v42, -v17
	v_fma_f16 v36, v4, s0, v44
	v_mul_f16_e32 v46, 0x3bf1, v45
	v_add_f16_e32 v17, v14, v5
	s_movk_i32 s1, 0x2fb7
	v_add_f16_e32 v36, v25, v36
	v_fma_f16 v22, v17, s1, v46
	v_add_f16_e32 v22, v22, v36
	v_mul_f16_sdwa v36, v6, v41 dst_sel:DWORD dst_unused:UNUSED_PAD src0_sel:WORD_1 src1_sel:DWORD
	v_mul_f16_sdwa v38, v13, v39 dst_sel:DWORD dst_unused:UNUSED_PAD src0_sel:WORD_1 src1_sel:DWORD
	v_fma_f16 v36, v6, v18, v36
	v_fma_f16 v38, v13, v21, v38
	v_mul_f16_sdwa v21, v13, v21 dst_sel:DWORD dst_unused:UNUSED_PAD src0_sel:WORD_1 src1_sel:DWORD
	v_mul_f16_sdwa v18, v6, v18 dst_sel:DWORD dst_unused:UNUSED_PAD src0_sel:WORD_1 src1_sel:DWORD
	v_sub_f16_e32 v42, v36, v38
	v_fma_f16 v13, v13, v39, -v21
	v_fma_f16 v6, v6, v41, -v18
	v_mul_f16_e32 v47, 0xba95, v42
	v_add_f16_e32 v18, v13, v6
	s_movk_i32 s4, 0x388b
	v_fma_f16 v21, v18, s4, v47
	v_add_f16_e32 v21, v21, v22
	v_mul_f16_sdwa v22, v7, v33 dst_sel:DWORD dst_unused:UNUSED_PAD src0_sel:WORD_1 src1_sel:DWORD
	v_mul_f16_sdwa v39, v12, v40 dst_sel:DWORD dst_unused:UNUSED_PAD src0_sel:WORD_1 src1_sel:DWORD
	v_fma_f16 v22, v7, v2, v22
	v_fma_f16 v39, v12, v24, v39
	v_mul_f16_sdwa v24, v12, v24 dst_sel:DWORD dst_unused:UNUSED_PAD src0_sel:WORD_1 src1_sel:DWORD
	v_mul_f16_sdwa v2, v7, v2 dst_sel:DWORD dst_unused:UNUSED_PAD src0_sel:WORD_1 src1_sel:DWORD
	v_sub_f16_e32 v41, v22, v39
	v_fma_f16 v12, v12, v40, -v24
	v_fma_f16 v2, v7, v33, -v2
	v_mul_f16_e32 v48, 0x33a8, v41
	v_add_f16_e32 v7, v12, v2
	s_mov_b32 s5, 0xbbc4
	v_fma_f16 v24, v7, s5, v48
	v_add_f16_e32 v21, v24, v21
	v_mul_f16_sdwa v24, v8, v28 dst_sel:DWORD dst_unused:UNUSED_PAD src0_sel:WORD_1 src1_sel:DWORD
	v_mul_f16_sdwa v33, v11, v29 dst_sel:DWORD dst_unused:UNUSED_PAD src0_sel:WORD_1 src1_sel:DWORD
	v_fma_f16 v24, v8, v3, v24
	v_fma_f16 v33, v11, v23, v33
	v_mul_f16_sdwa v23, v11, v23 dst_sel:DWORD dst_unused:UNUSED_PAD src0_sel:WORD_1 src1_sel:DWORD
	v_mul_f16_sdwa v3, v8, v3 dst_sel:DWORD dst_unused:UNUSED_PAD src0_sel:WORD_1 src1_sel:DWORD
	v_sub_f16_e32 v40, v24, v33
	v_fma_f16 v11, v11, v29, -v23
	v_fma_f16 v3, v8, v28, -v3
	v_mul_f16_e32 v49, 0x3770, v40
	v_add_f16_e32 v8, v11, v3
	s_movk_i32 s14, 0x3b15
	v_fma_f16 v23, v8, s14, v49
	v_add_f16_e32 v21, v23, v21
	v_mul_f16_sdwa v23, v9, v27 dst_sel:DWORD dst_unused:UNUSED_PAD src0_sel:WORD_1 src1_sel:DWORD
	v_mul_f16_sdwa v28, v10, v26 dst_sel:DWORD dst_unused:UNUSED_PAD src0_sel:WORD_1 src1_sel:DWORD
	v_fma_f16 v23, v9, v19, v23
	v_fma_f16 v28, v10, v20, v28
	v_mul_f16_sdwa v20, v10, v20 dst_sel:DWORD dst_unused:UNUSED_PAD src0_sel:WORD_1 src1_sel:DWORD
	v_mul_f16_sdwa v19, v9, v19 dst_sel:DWORD dst_unused:UNUSED_PAD src0_sel:WORD_1 src1_sel:DWORD
	v_sub_f16_e32 v29, v23, v28
	v_fma_f16 v10, v10, v26, -v20
	v_fma_f16 v9, v9, v27, -v19
	v_mul_f16_e32 v50, 0xbb7b, v29
	v_add_f16_e32 v19, v10, v9
	s_mov_b32 s15, 0xb5ac
	v_fma_f16 v20, v19, s15, v50
	v_sub_f16_e32 v26, v1, v15
	v_add_f16_e32 v20, v20, v21
	v_add_f16_e32 v21, v34, v30
	v_mul_f16_e32 v27, 0xb94e, v26
	v_sub_f16_e32 v53, v5, v14
	v_fma_f16 v51, v21, s0, -v27
	v_add_f16_e32 v52, v43, v37
	v_mul_f16_e32 v54, 0x3bf1, v53
	v_add_f16_e32 v51, v0, v51
	v_fma_f16 v55, v52, s1, -v54
	v_sub_f16_e32 v56, v6, v13
	v_add_f16_e32 v51, v55, v51
	v_add_f16_e32 v55, v38, v36
	v_mul_f16_e32 v57, 0xba95, v56
	v_fma_f16 v58, v55, s4, -v57
	v_sub_f16_e32 v59, v2, v12
	v_add_f16_e32 v51, v58, v51
	v_add_f16_e32 v58, v39, v22
	v_mul_f16_e32 v60, 0x33a8, v59
	;; [unrolled: 5-line block ×4, first 2 shown]
	v_fma_f16 v44, v4, s0, -v44
	v_fma_f16 v67, v64, s15, -v66
	v_add_f16_e32 v44, v25, v44
	v_fma_f16 v46, v17, s1, -v46
	v_add_f16_e32 v51, v67, v51
	v_mul_f16_e32 v67, 0xb3a8, v35
	v_add_f16_e32 v44, v46, v44
	v_fma_f16 v46, v18, s4, -v47
	v_fma_f16 v68, v4, s5, v67
	v_mul_f16_e32 v69, 0x3770, v45
	v_add_f16_e32 v44, v46, v44
	v_fma_f16 v46, v7, s5, -v48
	v_add_f16_e32 v68, v25, v68
	v_fma_f16 v70, v17, s14, v69
	v_add_f16_e32 v44, v46, v44
	v_fma_f16 v46, v8, s14, -v49
	v_add_f16_e32 v68, v70, v68
	v_mul_f16_e32 v70, 0xb94e, v42
	v_add_f16_e32 v44, v46, v44
	v_fma_f16 v46, v19, s15, -v50
	v_fma_f16 v27, v21, s0, v27
	v_fma_f16 v71, v18, s0, v70
	v_add_f16_e32 v44, v46, v44
	v_add_f16_e32 v27, v0, v27
	v_fma_f16 v46, v52, s1, v54
	v_add_f16_e32 v68, v71, v68
	v_mul_f16_e32 v71, 0x3a95, v41
	v_add_f16_e32 v27, v46, v27
	v_fma_f16 v46, v55, s4, v57
	v_fma_f16 v72, v7, s4, v71
	v_add_f16_e32 v27, v46, v27
	v_fma_f16 v46, v58, s5, v60
	v_add_f16_e32 v68, v72, v68
	v_mul_f16_e32 v72, 0xbb7b, v40
	v_add_f16_e32 v27, v46, v27
	v_fma_f16 v46, v61, s14, v63
	v_fma_f16 v73, v8, s15, v72
	v_add_f16_e32 v27, v46, v27
	v_fma_f16 v46, v64, s15, v66
	v_add_f16_e32 v68, v73, v68
	v_mul_f16_e32 v73, 0x3bf1, v29
	v_add_f16_e32 v27, v46, v27
	v_mul_f16_e32 v46, 0xb5ac, v4
	s_movk_i32 s22, 0x3b7b
	v_fma_f16 v74, v19, s1, v73
	v_fma_f16 v67, v4, s5, -v67
	s_mov_b32 s16, 0xb94e
	v_fma_f16 v47, v35, s22, v46
	v_mul_f16_e32 v48, 0xb9fd, v17
	v_add_f16_e32 v68, v74, v68
	v_mul_f16_e32 v74, 0xb3a8, v26
	v_add_f16_e32 v67, v25, v67
	v_fma_f16 v69, v17, s14, -v69
	v_add_f16_e32 v47, v25, v47
	v_fma_f16 v49, v45, s16, v48
	v_fma_f16 v75, v21, s5, -v74
	v_mul_f16_e32 v76, 0x3770, v53
	v_add_f16_e32 v67, v69, v67
	v_fma_f16 v69, v18, s0, -v70
	v_add_f16_e32 v47, v49, v47
	v_mul_f16_e32 v49, 0x3b15, v18
	s_mov_b32 s20, 0xb770
	v_add_f16_e32 v75, v0, v75
	v_fma_f16 v77, v52, s14, -v76
	v_add_f16_e32 v67, v69, v67
	v_fma_f16 v69, v7, s4, -v71
	v_fma_f16 v50, v42, s20, v49
	v_add_f16_e32 v75, v77, v75
	v_mul_f16_e32 v77, 0xb94e, v56
	v_add_f16_e32 v67, v69, v67
	v_fma_f16 v69, v8, s15, -v72
	s_movk_i32 s19, 0x3bf1
	v_add_f16_e32 v47, v50, v47
	v_mul_f16_e32 v50, 0x2fb7, v7
	v_fma_f16 v78, v55, s0, -v77
	v_add_f16_e32 v67, v69, v67
	v_fma_f16 v69, v19, s1, -v73
	v_fma_f16 v54, v41, s19, v50
	v_add_f16_e32 v75, v78, v75
	v_mul_f16_e32 v78, 0x3a95, v59
	v_add_f16_e32 v67, v69, v67
	v_fma_f16 v69, v21, s5, v74
	s_mov_b32 s17, 0xb3a8
	v_add_f16_e32 v47, v54, v47
	v_mul_f16_e32 v54, 0xbbc4, v8
	v_fma_f16 v79, v58, s4, -v78
	v_add_f16_e32 v69, v0, v69
	v_fma_f16 v70, v52, s14, v76
	v_fma_f16 v57, v40, s17, v54
	v_add_f16_e32 v75, v79, v75
	v_mul_f16_e32 v79, 0xbb7b, v62
	v_add_f16_e32 v69, v70, v69
	v_fma_f16 v70, v55, s0, v77
	s_mov_b32 s18, 0xba95
	v_add_f16_e32 v47, v57, v47
	v_mul_f16_e32 v57, 0x388b, v19
	v_fma_f16 v80, v61, s15, -v79
	v_add_f16_e32 v69, v70, v69
	v_fma_f16 v70, v58, s4, v78
	v_fma_f16 v60, v29, s18, v57
	v_add_f16_e32 v75, v80, v75
	v_mul_f16_e32 v80, 0x3bf1, v65
	v_add_f16_e32 v69, v70, v69
	v_fma_f16 v70, v61, s15, v79
	v_add_f16_e32 v47, v60, v47
	v_mul_f16_e32 v60, 0xbb7b, v26
	v_add_f16_e32 v69, v70, v69
	v_fma_f16 v70, v64, s1, v80
	v_fma_f16 v63, v21, s15, v60
	v_mul_f16_e32 v66, 0x394e, v53
	v_add_f16_e32 v69, v70, v69
	v_add_f16_e32 v63, v0, v63
	v_fma_f16 v70, v52, s0, v66
	v_add_f16_e32 v63, v70, v63
	v_mul_f16_e32 v70, 0x3770, v56
	v_fma_f16 v71, v55, s14, v70
	v_add_f16_e32 v63, v71, v63
	v_mul_f16_e32 v71, 0xbbf1, v59
	;; [unrolled: 3-line block ×5, first 2 shown]
	s_movk_i32 s23, 0x33a8
	v_fma_f16 v76, v35, s19, v74
	v_mul_f16_e32 v77, 0xbbc4, v17
	v_add_f16_e32 v76, v25, v76
	v_fma_f16 v78, v45, s23, v77
	v_add_f16_e32 v76, v78, v76
	s_mov_b32 s21, 0xbb7b
	v_mul_f16_e32 v78, 0xb5ac, v18
	v_fma_f16 v79, v42, s21, v78
	v_add_f16_e32 v76, v79, v76
	v_mul_f16_e32 v79, 0x3b15, v7
	v_fma_f16 v81, v64, s1, -v80
	v_fma_f16 v80, v41, s20, v79
	v_add_f16_e32 v76, v80, v76
	s_movk_i32 s24, 0x3a95
	v_mul_f16_e32 v80, 0x388b, v8
	v_add_f16_e32 v1, v1, v25
	v_add_f16_e32 v75, v81, v75
	v_fma_f16 v81, v40, s24, v80
	v_add_f16_e32 v1, v5, v1
	v_add_f16_e32 v76, v81, v76
	s_movk_i32 s25, 0x394e
	v_mul_f16_e32 v81, 0xb9fd, v19
	v_add_f16_e32 v1, v6, v1
	v_fma_f16 v82, v29, s25, v81
	v_add_f16_e32 v1, v2, v1
	v_fma_f16 v2, v35, s21, v46
	v_add_f16_e32 v76, v82, v76
	v_mul_f16_e32 v82, 0xbbf1, v26
	s_movk_i32 s27, 0x3770
	v_add_f16_e32 v1, v3, v1
	v_add_f16_e32 v2, v25, v2
	v_fma_f16 v3, v45, s25, v48
	v_fma_f16 v83, v21, s1, v82
	v_mul_f16_e32 v84, 0xb3a8, v53
	s_mov_b32 s26, 0xbbf1
	v_add_f16_e32 v2, v3, v2
	v_fma_f16 v3, v42, s27, v49
	v_add_f16_e32 v83, v0, v83
	v_fma_f16 v85, v52, s5, v84
	;; [unrolled: 2-line block ×3, first 2 shown]
	v_add_f16_e32 v83, v85, v83
	v_mul_f16_e32 v85, 0x3b7b, v56
	v_add_f16_e32 v2, v3, v2
	v_fma_f16 v3, v40, s23, v54
	v_fma_f16 v86, v55, s15, v85
	v_add_f16_e32 v2, v3, v2
	v_fma_f16 v3, v29, s24, v57
	v_add_f16_e32 v83, v86, v83
	v_mul_f16_e32 v86, 0x3770, v59
	v_add_f16_e32 v2, v3, v2
	v_fma_f16 v3, v21, s15, -v60
	v_fma_f16 v87, v58, s14, v86
	v_add_f16_e32 v3, v0, v3
	v_fma_f16 v5, v52, s0, -v66
	v_add_f16_e32 v83, v87, v83
	v_mul_f16_e32 v87, 0xba95, v62
	v_add_f16_e32 v3, v5, v3
	v_fma_f16 v5, v55, s14, -v70
	v_fma_f16 v88, v61, s4, v87
	v_add_f16_e32 v3, v5, v3
	v_fma_f16 v5, v58, s1, -v71
	;; [unrolled: 7-line block ×3, first 2 shown]
	v_add_f16_e32 v83, v89, v83
	v_mul_f16_e32 v89, 0x388b, v4
	v_add_f16_e32 v3, v5, v3
	v_fma_f16 v5, v35, s26, v74
	v_fma_f16 v90, v35, s24, v89
	v_mul_f16_e32 v91, 0xb5ac, v17
	v_add_f16_e32 v5, v25, v5
	v_fma_f16 v6, v45, s17, v77
	v_add_f16_e32 v90, v25, v90
	v_fma_f16 v92, v45, s22, v91
	v_add_f16_e32 v5, v6, v5
	v_fma_f16 v6, v42, s22, v78
	v_add_f16_e32 v90, v92, v90
	v_mul_f16_e32 v92, 0xbbc4, v18
	v_add_f16_e32 v5, v6, v5
	v_fma_f16 v6, v41, s27, v79
	v_fma_f16 v93, v42, s23, v92
	v_add_f16_e32 v5, v6, v5
	v_fma_f16 v6, v40, s18, v80
	v_add_f16_e32 v90, v93, v90
	v_mul_f16_e32 v93, 0xb9fd, v7
	v_add_f16_e32 v5, v6, v5
	v_fma_f16 v6, v29, s16, v81
	v_fma_f16 v94, v41, s16, v93
	v_add_f16_e32 v5, v6, v5
	v_fma_f16 v6, v21, s1, -v82
	v_add_f16_e32 v90, v94, v90
	v_mul_f16_e32 v94, 0x2fb7, v8
	v_add_f16_e32 v1, v9, v1
	v_add_f16_e32 v6, v0, v6
	v_fma_f16 v9, v52, s5, -v84
	v_fma_f16 v95, v40, s26, v94
	v_add_f16_e32 v6, v9, v6
	v_fma_f16 v9, v55, s15, -v85
	v_add_f16_e32 v90, v95, v90
	v_mul_f16_e32 v95, 0x3b15, v19
	v_add_f16_e32 v6, v9, v6
	v_fma_f16 v9, v58, s14, -v86
	v_fma_f16 v96, v29, s20, v95
	v_add_f16_e32 v6, v9, v6
	v_fma_f16 v9, v61, s4, -v87
	v_add_f16_e32 v90, v96, v90
	v_mul_f16_e32 v96, 0xba95, v26
	v_add_f16_e32 v6, v9, v6
	v_fma_f16 v9, v64, s0, -v88
	v_fma_f16 v97, v21, s4, v96
	v_mul_f16_e32 v98, 0xbb7b, v53
	v_add_f16_e32 v6, v9, v6
	v_fma_f16 v9, v35, s18, v89
	v_add_f16_e32 v97, v0, v97
	v_fma_f16 v99, v52, s15, v98
	v_add_f16_e32 v1, v10, v1
	v_add_f16_e32 v9, v25, v9
	v_fma_f16 v10, v45, s21, v91
	v_add_f16_e32 v97, v99, v97
	v_mul_f16_e32 v99, 0xb3a8, v56
	v_add_f16_e32 v9, v10, v9
	v_fma_f16 v10, v42, s17, v92
	v_fma_f16 v100, v55, s5, v99
	v_add_f16_e32 v9, v10, v9
	v_fma_f16 v10, v41, s25, v93
	v_add_f16_e32 v97, v100, v97
	v_mul_f16_e32 v100, 0x394e, v59
	v_add_f16_e32 v9, v10, v9
	v_fma_f16 v10, v40, s19, v94
	v_fma_f16 v101, v58, s0, v100
	v_add_f16_e32 v9, v10, v9
	v_fma_f16 v10, v29, s27, v95
	v_add_f16_e32 v97, v101, v97
	v_mul_f16_e32 v101, 0x3bf1, v62
	v_add_f16_e32 v9, v10, v9
	v_fma_f16 v10, v21, s4, -v96
	v_fma_f16 v102, v61, s1, v101
	v_add_f16_e32 v1, v11, v1
	v_add_f16_e32 v10, v0, v10
	v_fma_f16 v11, v52, s15, -v98
	v_add_f16_e32 v97, v102, v97
	v_mul_f16_e32 v102, 0x3770, v65
	v_add_f16_e32 v10, v11, v10
	v_fma_f16 v11, v55, s5, -v99
	v_fma_f16 v103, v64, s14, v102
	v_mul_f16_e32 v4, 0x3b15, v4
	v_add_f16_e32 v10, v11, v10
	v_fma_f16 v11, v58, s0, -v100
	v_add_f16_e32 v97, v103, v97
	v_fma_f16 v103, v35, s27, v4
	v_mul_f16_e32 v17, 0x388b, v17
	v_add_f16_e32 v10, v11, v10
	v_fma_f16 v11, v61, s1, -v101
	v_add_f16_e32 v103, v25, v103
	v_fma_f16 v104, v45, s24, v17
	v_mul_f16_e32 v18, 0x2fb7, v18
	v_add_f16_e32 v30, v0, v30
	v_add_f16_e32 v10, v11, v10
	v_fma_f16 v11, v64, s14, -v102
	v_fma_f16 v4, v35, s20, v4
	v_add_f16_e32 v103, v104, v103
	v_fma_f16 v104, v42, s19, v18
	v_mul_f16_e32 v7, 0xb5ac, v7
	v_add_f16_e32 v30, v37, v30
	v_add_f16_e32 v10, v11, v10
	;; [unrolled: 1-line block ×3, first 2 shown]
	v_fma_f16 v11, v45, s18, v17
	v_add_f16_e32 v103, v104, v103
	v_fma_f16 v104, v41, s22, v7
	v_mul_f16_e32 v8, 0xb9fd, v8
	v_add_f16_e32 v30, v36, v30
	v_add_f16_e32 v4, v11, v4
	v_fma_f16 v11, v42, s26, v18
	v_add_f16_e32 v103, v104, v103
	v_fma_f16 v104, v40, s25, v8
	v_mul_f16_e32 v19, 0xbbc4, v19
	v_add_f16_e32 v22, v22, v30
	v_add_f16_e32 v4, v11, v4
	;; [unrolled: 6-line block ×5, first 2 shown]
	v_fma_f16 v7, v21, s14, -v26
	v_add_f16_e32 v104, v105, v104
	v_fma_f16 v105, v55, s1, v56
	v_mul_f16_e32 v59, 0xbb7b, v59
	v_add_f16_e32 v22, v33, v22
	v_add_f16_e32 v0, v0, v7
	v_fma_f16 v7, v52, s4, -v53
	v_add_f16_e32 v104, v105, v104
	v_fma_f16 v105, v58, s15, v59
	v_mul_f16_e32 v62, 0xb94e, v62
	v_add_f16_e32 v22, v39, v22
	v_add_f16_e32 v1, v12, v1
	;; [unrolled: 1-line block ×3, first 2 shown]
	v_fma_f16 v7, v55, s1, -v56
	v_add_f16_e32 v104, v105, v104
	v_fma_f16 v105, v61, s0, v62
	v_mul_f16_e32 v65, 0xb3a8, v65
	v_add_f16_e32 v22, v38, v22
	v_add_f16_e32 v1, v13, v1
	;; [unrolled: 1-line block ×3, first 2 shown]
	v_fma_f16 v7, v58, s15, -v59
	v_add_f16_e32 v104, v105, v104
	v_fma_f16 v105, v64, s5, v65
	v_add_f16_e32 v22, v43, v22
	v_add_f16_e32 v1, v14, v1
	;; [unrolled: 1-line block ×3, first 2 shown]
	v_fma_f16 v7, v61, s0, -v62
	v_add_f16_e32 v104, v105, v104
	v_add_f16_e32 v22, v34, v22
	;; [unrolled: 1-line block ×4, first 2 shown]
	v_fma_f16 v7, v64, s5, -v65
	v_add_f16_e32 v0, v7, v0
	v_pack_b32_f16 v1, v22, v1
	v_pack_b32_f16 v7, v104, v103
	ds_write2_b32 v31, v1, v7 offset1:63
	v_pack_b32_f16 v1, v97, v90
	v_pack_b32_f16 v7, v83, v76
	ds_write2_b32 v31, v1, v7 offset0:126 offset1:189
	v_pack_b32_f16 v1, v63, v47
	v_pack_b32_f16 v7, v27, v44
	v_add_u32_e32 v8, 0x200, v31
	ds_write2_b32 v8, v1, v7 offset0:124 offset1:187
	v_pack_b32_f16 v1, v69, v67
	v_pack_b32_f16 v7, v75, v68
	v_add_u32_e32 v8, 0x400, v31
	;; [unrolled: 4-line block ×4, first 2 shown]
	v_pack_b32_f16 v0, v0, v4
	ds_write2_b32 v3, v1, v2 offset0:118 offset1:181
	ds_write_b32 v31, v0 offset:3024
.LBB0_21:
	s_or_b64 exec, exec, s[2:3]
	s_waitcnt lgkmcnt(0)
	s_barrier
	s_and_b64 exec, exec, vcc
	s_cbranch_execz .LBB0_23
; %bb.22:
	global_load_dword v7, v31, s[6:7]
	global_load_dword v6, v31, s[6:7] offset:364
	ds_read_b32 v17, v31
	v_mad_u64_u32 v[12:13], s[0:1], s10, v16, 0
	v_mad_u64_u32 v[2:3], s[0:1], s8, v32, 0
	v_mov_b32_e32 v4, 0x7c00
	v_mad_u64_u32 v[13:14], s[0:1], s11, v16, v[13:14]
	s_waitcnt lgkmcnt(0)
	v_lshrrev_b32_e32 v16, 16, v17
	v_mad_u64_u32 v[14:15], s[0:1], s9, v32, v[3:4]
	ds_read2_b32 v[0:1], v31 offset0:91 offset1:182
	s_mov_b32 s14, 0x14014014
	s_mov_b32 s15, 0x3f540140
	s_movk_i32 s18, 0x1ff
	global_load_dword v8, v31, s[6:7] offset:728
	global_load_dword v9, v31, s[6:7] offset:1092
	global_load_dword v10, v31, s[6:7] offset:1456
	global_load_dword v11, v31, s[6:7] offset:1820
	global_load_dword v5, v31, s[6:7] offset:2184
	s_waitcnt lgkmcnt(0)
	v_lshrrev_b32_e32 v21, 16, v0
	s_movk_i32 s17, 0xffe
	s_movk_i32 s16, 0x40f
	s_mov_b32 s10, 0x8000
	v_lshlrev_b64 v[12:13], 2, v[12:13]
	s_waitcnt vmcnt(6)
	v_mul_f16_sdwa v3, v16, v7 dst_sel:DWORD dst_unused:UNUSED_PAD src0_sel:DWORD src1_sel:WORD_1
	v_fma_f16 v3, v17, v7, v3
	v_mul_f16_sdwa v15, v17, v7 dst_sel:DWORD dst_unused:UNUSED_PAD src0_sel:DWORD src1_sel:WORD_1
	v_cvt_f32_f16_e32 v3, v3
	v_fma_f16 v7, v7, v16, -v15
	v_cvt_f32_f16_e32 v7, v7
	v_cvt_f64_f32_e32 v[15:16], v3
	s_waitcnt vmcnt(5)
	v_mul_f16_sdwa v3, v21, v6 dst_sel:DWORD dst_unused:UNUSED_PAD src0_sel:DWORD src1_sel:WORD_1
	v_cvt_f64_f32_e32 v[17:18], v7
	v_fma_f16 v3, v0, v6, v3
	v_mul_f64 v[15:16], v[15:16], s[14:15]
	v_cvt_f32_f16_e32 v7, v3
	v_mul_f64 v[17:18], v[17:18], s[14:15]
	v_mov_b32_e32 v3, v14
	v_lshlrev_b64 v[2:3], 2, v[2:3]
	v_cvt_f64_f32_e32 v[19:20], v7
	v_mul_f16_sdwa v0, v0, v6 dst_sel:DWORD dst_unused:UNUSED_PAD src0_sel:DWORD src1_sel:WORD_1
	v_fma_f16 v0, v6, v21, -v0
	v_and_or_b32 v7, v16, s18, v15
	v_cmp_ne_u32_e32 vcc, 0, v7
	v_and_or_b32 v17, v18, s18, v17
	v_lshrrev_b32_e32 v14, 8, v16
	v_bfe_u32 v15, v16, 20, 11
	v_cndmask_b32_e64 v7, 0, 1, vcc
	v_cmp_ne_u32_e32 vcc, 0, v17
	v_lshrrev_b32_e32 v22, 8, v18
	v_bfe_u32 v23, v18, 20, 11
	v_sub_u32_e32 v24, 0x3f1, v15
	v_cndmask_b32_e64 v17, 0, 1, vcc
	v_and_or_b32 v7, v14, s17, v7
	v_sub_u32_e32 v25, 0x3f1, v23
	v_med3_i32 v14, v24, 0, 13
	v_and_or_b32 v17, v22, s17, v17
	v_or_b32_e32 v24, 0x1000, v7
	v_add_u32_e32 v15, 0xfffffc10, v15
	v_med3_i32 v22, v25, 0, 13
	v_cmp_ne_u32_e32 vcc, 0, v7
	v_or_b32_e32 v26, 0x1000, v17
	v_lshrrev_b32_e32 v28, v14, v24
	v_add_u32_e32 v23, 0xfffffc10, v23
	v_lshl_or_b32 v25, v15, 12, v7
	v_cndmask_b32_e64 v7, 0, 1, vcc
	v_cmp_ne_u32_e32 vcc, 0, v17
	v_lshrrev_b32_e32 v29, v22, v26
	v_lshlrev_b32_e32 v14, v14, v28
	v_lshl_or_b32 v27, v23, 12, v17
	v_cndmask_b32_e64 v17, 0, 1, vcc
	v_lshlrev_b32_e32 v22, v22, v29
	v_cmp_ne_u32_e32 vcc, v14, v24
	v_cndmask_b32_e64 v14, 0, 1, vcc
	v_cmp_ne_u32_e32 vcc, v22, v26
	v_cndmask_b32_e64 v22, 0, 1, vcc
	v_or_b32_e32 v14, v28, v14
	v_cmp_gt_i32_e32 vcc, 1, v15
	v_cndmask_b32_e32 v14, v25, v14, vcc
	v_or_b32_e32 v22, v29, v22
	v_cmp_gt_i32_e32 vcc, 1, v23
	v_and_b32_e32 v24, 7, v14
	v_cndmask_b32_e32 v22, v27, v22, vcc
	v_cmp_lt_i32_e32 vcc, 5, v24
	v_cmp_eq_u32_e64 s[0:1], 3, v24
	v_lshrrev_b32_e32 v14, 2, v14
	v_and_b32_e32 v25, 7, v22
	s_or_b64 vcc, s[0:1], vcc
	v_cmp_lt_i32_e64 s[2:3], 5, v25
	v_cmp_eq_u32_e64 s[4:5], 3, v25
	v_addc_co_u32_e32 v14, vcc, 0, v14, vcc
	v_lshrrev_b32_e32 v22, 2, v22
	s_or_b64 vcc, s[4:5], s[2:3]
	v_addc_co_u32_e32 v22, vcc, 0, v22, vcc
	v_cmp_gt_i32_e32 vcc, 31, v15
	v_cndmask_b32_e32 v14, v4, v14, vcc
	v_cmp_gt_i32_e32 vcc, 31, v23
	v_lshl_or_b32 v7, v7, 9, v4
	v_cndmask_b32_e32 v22, v4, v22, vcc
	v_cmp_eq_u32_e32 vcc, s16, v15
	v_lshrrev_b32_e32 v16, 16, v16
	v_lshl_or_b32 v17, v17, 9, v4
	v_cndmask_b32_e32 v7, v14, v7, vcc
	v_cmp_eq_u32_e32 vcc, s16, v23
	v_lshrrev_b32_e32 v18, 16, v18
	v_cndmask_b32_e32 v14, v22, v17, vcc
	v_and_or_b32 v7, v16, s10, v7
	v_and_or_b32 v14, v18, s10, v14
	v_and_b32_e32 v7, 0xffff, v7
	v_lshl_or_b32 v7, v14, 16, v7
	v_mul_f64 v[14:15], v[19:20], s[14:15]
	v_mov_b32_e32 v16, s13
	v_add_co_u32_e32 v12, vcc, s12, v12
	v_addc_co_u32_e32 v13, vcc, v16, v13, vcc
	v_add_co_u32_e32 v2, vcc, v12, v2
	v_addc_co_u32_e32 v3, vcc, v13, v3, vcc
	global_store_dword v[2:3], v7, off
	v_and_or_b32 v7, v15, s18, v14
	v_cmp_ne_u32_e32 vcc, 0, v7
	v_cndmask_b32_e64 v7, 0, 1, vcc
	v_lshrrev_b32_e32 v12, 8, v15
	v_bfe_u32 v13, v15, 20, 11
	v_and_or_b32 v12, v12, s17, v7
	v_sub_u32_e32 v14, 0x3f1, v13
	v_or_b32_e32 v7, 0x1000, v12
	v_med3_i32 v14, v14, 0, 13
	v_lshrrev_b32_e32 v16, v14, v7
	v_lshlrev_b32_e32 v14, v14, v16
	v_cmp_ne_u32_e32 vcc, v14, v7
	v_cndmask_b32_e64 v7, 0, 1, vcc
	v_add_u32_e32 v13, 0xfffffc10, v13
	v_cvt_f32_f16_e32 v0, v0
	v_or_b32_e32 v7, v16, v7
	v_lshl_or_b32 v14, v13, 12, v12
	v_cmp_gt_i32_e32 vcc, 1, v13
	v_cndmask_b32_e32 v7, v14, v7, vcc
	v_and_b32_e32 v14, 7, v7
	v_cmp_lt_i32_e32 vcc, 5, v14
	v_cmp_eq_u32_e64 s[0:1], 3, v14
	v_lshrrev_b32_e32 v14, 2, v7
	v_cvt_f64_f32_e32 v[6:7], v0
	s_or_b64 vcc, s[0:1], vcc
	v_addc_co_u32_e32 v0, vcc, 0, v14, vcc
	v_mul_f64 v[6:7], v[6:7], s[14:15]
	v_cmp_gt_i32_e32 vcc, 31, v13
	v_cndmask_b32_e32 v0, v4, v0, vcc
	v_cmp_ne_u32_e32 vcc, 0, v12
	v_cndmask_b32_e64 v12, 0, 1, vcc
	v_lshl_or_b32 v12, v12, 9, v4
	v_cmp_eq_u32_e32 vcc, s16, v13
	v_cndmask_b32_e32 v0, v0, v12, vcc
	v_and_or_b32 v6, v7, s18, v6
	v_lshrrev_b32_e32 v12, 16, v15
	v_cmp_ne_u32_e32 vcc, 0, v6
	v_and_or_b32 v0, v12, s10, v0
	v_cndmask_b32_e64 v6, 0, 1, vcc
	v_lshrrev_b32_e32 v12, 8, v7
	v_bfe_u32 v13, v7, 20, 11
	v_and_or_b32 v6, v12, s17, v6
	v_sub_u32_e32 v14, 0x3f1, v13
	v_or_b32_e32 v12, 0x1000, v6
	v_med3_i32 v14, v14, 0, 13
	v_lshrrev_b32_e32 v15, v14, v12
	v_lshlrev_b32_e32 v14, v14, v15
	v_cmp_ne_u32_e32 vcc, v14, v12
	v_cndmask_b32_e64 v12, 0, 1, vcc
	v_add_u32_e32 v13, 0xfffffc10, v13
	v_or_b32_e32 v12, v15, v12
	v_lshl_or_b32 v14, v13, 12, v6
	v_cmp_gt_i32_e32 vcc, 1, v13
	v_cndmask_b32_e32 v12, v14, v12, vcc
	v_and_b32_e32 v14, 7, v12
	v_cmp_lt_i32_e32 vcc, 5, v14
	v_cmp_eq_u32_e64 s[0:1], 3, v14
	v_lshrrev_b32_e32 v12, 2, v12
	s_or_b64 vcc, s[0:1], vcc
	v_addc_co_u32_e32 v12, vcc, 0, v12, vcc
	v_cmp_gt_i32_e32 vcc, 31, v13
	v_cndmask_b32_e32 v12, v4, v12, vcc
	v_cmp_ne_u32_e32 vcc, 0, v6
	v_cndmask_b32_e64 v6, 0, 1, vcc
	v_lshl_or_b32 v6, v6, 9, v4
	v_cmp_eq_u32_e32 vcc, s16, v13
	v_cndmask_b32_e32 v6, v12, v6, vcc
	v_lshrrev_b32_e32 v12, 16, v1
	s_waitcnt vmcnt(5)
	v_mul_f16_sdwa v13, v12, v8 dst_sel:DWORD dst_unused:UNUSED_PAD src0_sel:DWORD src1_sel:WORD_1
	v_fma_f16 v13, v1, v8, v13
	v_cvt_f32_f16_e32 v13, v13
	v_lshrrev_b32_e32 v7, 16, v7
	v_and_or_b32 v6, v7, s10, v6
	v_and_b32_e32 v0, 0xffff, v0
	v_lshl_or_b32 v0, v6, 16, v0
	v_cvt_f64_f32_e32 v[6:7], v13
	s_mul_i32 s0, s9, 0x16c
	s_mul_hi_u32 s2, s8, 0x16c
	s_add_i32 s2, s2, s0
	v_mul_f64 v[6:7], v[6:7], s[14:15]
	s_mul_i32 s3, s8, 0x16c
	v_mov_b32_e32 v13, s2
	v_add_co_u32_e32 v2, vcc, s3, v2
	v_addc_co_u32_e32 v3, vcc, v3, v13, vcc
	global_store_dword v[2:3], v0, off
	v_and_or_b32 v0, v7, s18, v6
	v_cmp_ne_u32_e32 vcc, 0, v0
	v_cndmask_b32_e64 v0, 0, 1, vcc
	v_lshrrev_b32_e32 v6, 8, v7
	v_bfe_u32 v13, v7, 20, 11
	v_and_or_b32 v6, v6, s17, v0
	v_sub_u32_e32 v14, 0x3f1, v13
	v_or_b32_e32 v0, 0x1000, v6
	v_med3_i32 v14, v14, 0, 13
	v_lshrrev_b32_e32 v15, v14, v0
	v_mul_f16_sdwa v1, v1, v8 dst_sel:DWORD dst_unused:UNUSED_PAD src0_sel:DWORD src1_sel:WORD_1
	v_lshlrev_b32_e32 v14, v14, v15
	v_fma_f16 v1, v8, v12, -v1
	v_cmp_ne_u32_e32 vcc, v14, v0
	v_cvt_f32_f16_e32 v1, v1
	v_cndmask_b32_e64 v0, 0, 1, vcc
	v_add_u32_e32 v13, 0xfffffc10, v13
	v_or_b32_e32 v0, v15, v0
	v_lshl_or_b32 v14, v13, 12, v6
	v_cmp_gt_i32_e32 vcc, 1, v13
	v_cndmask_b32_e32 v0, v14, v0, vcc
	v_and_b32_e32 v14, 7, v0
	v_lshrrev_b32_e32 v8, 2, v0
	v_cvt_f64_f32_e32 v[0:1], v1
	v_cmp_lt_i32_e32 vcc, 5, v14
	v_cmp_eq_u32_e64 s[0:1], 3, v14
	s_or_b64 vcc, s[0:1], vcc
	v_mul_f64 v[0:1], v[0:1], s[14:15]
	v_addc_co_u32_e32 v8, vcc, 0, v8, vcc
	v_cmp_gt_i32_e32 vcc, 31, v13
	v_cndmask_b32_e32 v8, v4, v8, vcc
	v_cmp_ne_u32_e32 vcc, 0, v6
	v_cndmask_b32_e64 v6, 0, 1, vcc
	v_lshl_or_b32 v6, v6, 9, v4
	v_cmp_eq_u32_e32 vcc, s16, v13
	v_and_or_b32 v0, v1, s18, v0
	v_cndmask_b32_e32 v6, v8, v6, vcc
	v_lshrrev_b32_e32 v7, 16, v7
	v_cmp_ne_u32_e32 vcc, 0, v0
	v_and_or_b32 v8, v7, s10, v6
	v_cndmask_b32_e64 v0, 0, 1, vcc
	v_lshrrev_b32_e32 v6, 8, v1
	v_bfe_u32 v7, v1, 20, 11
	v_and_or_b32 v0, v6, s17, v0
	v_sub_u32_e32 v12, 0x3f1, v7
	v_or_b32_e32 v6, 0x1000, v0
	v_med3_i32 v12, v12, 0, 13
	v_lshrrev_b32_e32 v13, v12, v6
	v_lshlrev_b32_e32 v12, v12, v13
	v_cmp_ne_u32_e32 vcc, v12, v6
	v_cndmask_b32_e64 v6, 0, 1, vcc
	v_add_u32_e32 v12, 0xfffffc10, v7
	v_or_b32_e32 v6, v13, v6
	v_lshl_or_b32 v7, v12, 12, v0
	v_cmp_gt_i32_e32 vcc, 1, v12
	v_cndmask_b32_e32 v6, v7, v6, vcc
	v_and_b32_e32 v7, 7, v6
	v_cmp_lt_i32_e32 vcc, 5, v7
	v_cmp_eq_u32_e64 s[0:1], 3, v7
	v_lshrrev_b32_e32 v6, 2, v6
	s_or_b64 vcc, s[0:1], vcc
	v_addc_co_u32_e32 v13, vcc, 0, v6, vcc
	v_add_u32_e32 v6, 0x400, v31
	ds_read2_b32 v[6:7], v6 offset0:17 offset1:108
	v_cmp_gt_i32_e32 vcc, 31, v12
	v_cndmask_b32_e32 v13, v4, v13, vcc
	v_cmp_ne_u32_e32 vcc, 0, v0
	v_cndmask_b32_e64 v0, 0, 1, vcc
	s_waitcnt lgkmcnt(0)
	v_lshrrev_b32_e32 v14, 16, v6
	s_waitcnt vmcnt(5)
	v_mul_f16_sdwa v15, v14, v9 dst_sel:DWORD dst_unused:UNUSED_PAD src0_sel:DWORD src1_sel:WORD_1
	v_fma_f16 v15, v6, v9, v15
	v_cvt_f32_f16_e32 v15, v15
	v_lshl_or_b32 v0, v0, 9, v4
	v_cmp_eq_u32_e32 vcc, s16, v12
	v_cndmask_b32_e32 v0, v13, v0, vcc
	v_cvt_f64_f32_e32 v[12:13], v15
	v_lshrrev_b32_e32 v1, 16, v1
	v_and_or_b32 v15, v1, s10, v0
	v_add_co_u32_e32 v2, vcc, s3, v2
	v_mul_f64 v[0:1], v[12:13], s[14:15]
	v_mov_b32_e32 v12, s2
	v_and_b32_e32 v8, 0xffff, v8
	v_addc_co_u32_e32 v3, vcc, v3, v12, vcc
	v_lshl_or_b32 v8, v15, 16, v8
	global_store_dword v[2:3], v8, off
	v_mul_f16_sdwa v6, v6, v9 dst_sel:DWORD dst_unused:UNUSED_PAD src0_sel:DWORD src1_sel:WORD_1
	v_and_or_b32 v0, v1, s18, v0
	v_cmp_ne_u32_e32 vcc, 0, v0
	v_cndmask_b32_e64 v0, 0, 1, vcc
	v_lshrrev_b32_e32 v8, 8, v1
	v_bfe_u32 v12, v1, 20, 11
	v_and_or_b32 v0, v8, s17, v0
	v_sub_u32_e32 v13, 0x3f1, v12
	v_or_b32_e32 v8, 0x1000, v0
	v_med3_i32 v13, v13, 0, 13
	v_lshrrev_b32_e32 v15, v13, v8
	v_lshlrev_b32_e32 v13, v13, v15
	v_cmp_ne_u32_e32 vcc, v13, v8
	v_fma_f16 v6, v9, v14, -v6
	v_cndmask_b32_e64 v8, 0, 1, vcc
	v_add_u32_e32 v12, 0xfffffc10, v12
	v_cvt_f32_f16_e32 v6, v6
	v_or_b32_e32 v8, v15, v8
	v_lshl_or_b32 v13, v12, 12, v0
	v_cmp_gt_i32_e32 vcc, 1, v12
	v_cndmask_b32_e32 v8, v13, v8, vcc
	v_and_b32_e32 v13, 7, v8
	v_cmp_lt_i32_e32 vcc, 5, v13
	v_cmp_eq_u32_e64 s[0:1], 3, v13
	v_lshrrev_b32_e32 v13, 2, v8
	v_cvt_f64_f32_e32 v[8:9], v6
	s_or_b64 vcc, s[0:1], vcc
	v_addc_co_u32_e32 v6, vcc, 0, v13, vcc
	v_mul_f64 v[8:9], v[8:9], s[14:15]
	v_cmp_gt_i32_e32 vcc, 31, v12
	v_cndmask_b32_e32 v6, v4, v6, vcc
	v_cmp_ne_u32_e32 vcc, 0, v0
	v_cndmask_b32_e64 v0, 0, 1, vcc
	v_lshl_or_b32 v0, v0, 9, v4
	v_cmp_eq_u32_e32 vcc, s16, v12
	v_cndmask_b32_e32 v0, v6, v0, vcc
	v_lshrrev_b32_e32 v1, 16, v1
	v_and_or_b32 v6, v1, s10, v0
	v_and_or_b32 v0, v9, s18, v8
	v_cmp_ne_u32_e32 vcc, 0, v0
	v_cndmask_b32_e64 v0, 0, 1, vcc
	v_lshrrev_b32_e32 v1, 8, v9
	v_bfe_u32 v8, v9, 20, 11
	v_and_or_b32 v0, v1, s17, v0
	v_sub_u32_e32 v12, 0x3f1, v8
	v_or_b32_e32 v1, 0x1000, v0
	v_med3_i32 v12, v12, 0, 13
	v_lshrrev_b32_e32 v13, v12, v1
	v_lshlrev_b32_e32 v12, v12, v13
	v_cmp_ne_u32_e32 vcc, v12, v1
	v_cndmask_b32_e64 v1, 0, 1, vcc
	v_add_u32_e32 v8, 0xfffffc10, v8
	v_or_b32_e32 v1, v13, v1
	v_lshl_or_b32 v12, v8, 12, v0
	v_cmp_gt_i32_e32 vcc, 1, v8
	v_cndmask_b32_e32 v1, v12, v1, vcc
	v_and_b32_e32 v12, 7, v1
	v_cmp_lt_i32_e32 vcc, 5, v12
	v_cmp_eq_u32_e64 s[0:1], 3, v12
	v_lshrrev_b32_e32 v12, 16, v7
	v_lshrrev_b32_e32 v1, 2, v1
	s_or_b64 vcc, s[0:1], vcc
	s_waitcnt vmcnt(5)
	v_mul_f16_sdwa v13, v12, v10 dst_sel:DWORD dst_unused:UNUSED_PAD src0_sel:DWORD src1_sel:WORD_1
	v_addc_co_u32_e32 v1, vcc, 0, v1, vcc
	v_fma_f16 v13, v7, v10, v13
	v_cmp_gt_i32_e32 vcc, 31, v8
	v_cvt_f32_f16_e32 v13, v13
	v_cndmask_b32_e32 v1, v4, v1, vcc
	v_cmp_ne_u32_e32 vcc, 0, v0
	v_cndmask_b32_e64 v0, 0, 1, vcc
	v_lshl_or_b32 v0, v0, 9, v4
	v_cmp_eq_u32_e32 vcc, s16, v8
	v_cndmask_b32_e32 v8, v1, v0, vcc
	v_cvt_f64_f32_e32 v[0:1], v13
	v_lshrrev_b32_e32 v9, 16, v9
	v_and_or_b32 v8, v9, s10, v8
	v_and_b32_e32 v6, 0xffff, v6
	v_mul_f64 v[0:1], v[0:1], s[14:15]
	v_lshl_or_b32 v6, v8, 16, v6
	v_mov_b32_e32 v8, s2
	v_add_co_u32_e32 v2, vcc, s3, v2
	v_addc_co_u32_e32 v3, vcc, v3, v8, vcc
	global_store_dword v[2:3], v6, off
	v_and_or_b32 v0, v1, s18, v0
	v_cmp_ne_u32_e32 vcc, 0, v0
	v_cndmask_b32_e64 v0, 0, 1, vcc
	v_lshrrev_b32_e32 v6, 8, v1
	v_bfe_u32 v8, v1, 20, 11
	v_and_or_b32 v0, v6, s17, v0
	v_sub_u32_e32 v9, 0x3f1, v8
	v_or_b32_e32 v6, 0x1000, v0
	v_med3_i32 v9, v9, 0, 13
	v_lshrrev_b32_e32 v13, v9, v6
	v_lshlrev_b32_e32 v9, v9, v13
	v_mul_f16_sdwa v7, v7, v10 dst_sel:DWORD dst_unused:UNUSED_PAD src0_sel:DWORD src1_sel:WORD_1
	v_cmp_ne_u32_e32 vcc, v9, v6
	v_fma_f16 v7, v10, v12, -v7
	v_cndmask_b32_e64 v6, 0, 1, vcc
	v_add_u32_e32 v8, 0xfffffc10, v8
	v_cvt_f32_f16_e32 v7, v7
	v_or_b32_e32 v6, v13, v6
	v_lshl_or_b32 v9, v8, 12, v0
	v_cmp_gt_i32_e32 vcc, 1, v8
	v_cndmask_b32_e32 v6, v9, v6, vcc
	v_and_b32_e32 v9, 7, v6
	v_cmp_lt_i32_e32 vcc, 5, v9
	v_cmp_eq_u32_e64 s[0:1], 3, v9
	v_lshrrev_b32_e32 v9, 2, v6
	v_cvt_f64_f32_e32 v[6:7], v7
	s_or_b64 vcc, s[0:1], vcc
	v_addc_co_u32_e32 v9, vcc, 0, v9, vcc
	v_mul_f64 v[6:7], v[6:7], s[14:15]
	v_cmp_gt_i32_e32 vcc, 31, v8
	v_cndmask_b32_e32 v9, v4, v9, vcc
	v_cmp_ne_u32_e32 vcc, 0, v0
	v_cndmask_b32_e64 v0, 0, 1, vcc
	v_lshl_or_b32 v0, v0, 9, v4
	v_cmp_eq_u32_e32 vcc, s16, v8
	v_cndmask_b32_e32 v0, v9, v0, vcc
	v_lshrrev_b32_e32 v1, 16, v1
	v_and_or_b32 v10, v1, s10, v0
	v_and_or_b32 v0, v7, s18, v6
	v_cmp_ne_u32_e32 vcc, 0, v0
	v_cndmask_b32_e64 v0, 0, 1, vcc
	v_lshrrev_b32_e32 v1, 8, v7
	v_and_or_b32 v6, v1, s17, v0
	v_bfe_u32 v1, v7, 20, 11
	v_sub_u32_e32 v8, 0x3f1, v1
	v_or_b32_e32 v0, 0x1000, v6
	v_med3_i32 v8, v8, 0, 13
	v_lshrrev_b32_e32 v9, v8, v0
	v_lshlrev_b32_e32 v8, v8, v9
	v_cmp_ne_u32_e32 vcc, v8, v0
	v_cndmask_b32_e64 v0, 0, 1, vcc
	v_add_u32_e32 v8, 0xfffffc10, v1
	v_or_b32_e32 v0, v9, v0
	v_lshl_or_b32 v1, v8, 12, v6
	v_cmp_gt_i32_e32 vcc, 1, v8
	v_cndmask_b32_e32 v0, v1, v0, vcc
	v_and_b32_e32 v1, 7, v0
	v_cmp_lt_i32_e32 vcc, 5, v1
	v_cmp_eq_u32_e64 s[0:1], 3, v1
	v_lshrrev_b32_e32 v0, 2, v0
	s_or_b64 vcc, s[0:1], vcc
	v_addc_co_u32_e32 v9, vcc, 0, v0, vcc
	v_add_u32_e32 v0, 0x600, v31
	ds_read2_b32 v[0:1], v0 offset0:71 offset1:162
	v_cmp_gt_i32_e32 vcc, 31, v8
	v_cndmask_b32_e32 v9, v4, v9, vcc
	v_cmp_ne_u32_e32 vcc, 0, v6
	v_cndmask_b32_e64 v6, 0, 1, vcc
	s_waitcnt lgkmcnt(0)
	v_lshrrev_b32_e32 v12, 16, v0
	s_waitcnt vmcnt(5)
	v_mul_f16_sdwa v13, v12, v11 dst_sel:DWORD dst_unused:UNUSED_PAD src0_sel:DWORD src1_sel:WORD_1
	v_fma_f16 v13, v0, v11, v13
	v_cvt_f32_f16_e32 v13, v13
	v_lshl_or_b32 v6, v6, 9, v4
	v_cmp_eq_u32_e32 vcc, s16, v8
	v_cndmask_b32_e32 v6, v9, v6, vcc
	v_cvt_f64_f32_e32 v[8:9], v13
	v_lshrrev_b32_e32 v7, 16, v7
	v_and_or_b32 v13, v7, s10, v6
	v_add_co_u32_e32 v2, vcc, s3, v2
	v_mul_f64 v[6:7], v[8:9], s[14:15]
	v_mov_b32_e32 v9, s2
	v_and_b32_e32 v10, 0xffff, v10
	v_addc_co_u32_e32 v3, vcc, v3, v9, vcc
	v_lshl_or_b32 v8, v13, 16, v10
	global_store_dword v[2:3], v8, off
	v_mul_f16_sdwa v0, v0, v11 dst_sel:DWORD dst_unused:UNUSED_PAD src0_sel:DWORD src1_sel:WORD_1
	v_and_or_b32 v6, v7, s18, v6
	v_cmp_ne_u32_e32 vcc, 0, v6
	v_cndmask_b32_e64 v6, 0, 1, vcc
	v_lshrrev_b32_e32 v8, 8, v7
	v_bfe_u32 v9, v7, 20, 11
	v_and_or_b32 v6, v8, s17, v6
	v_sub_u32_e32 v10, 0x3f1, v9
	v_or_b32_e32 v8, 0x1000, v6
	v_med3_i32 v10, v10, 0, 13
	v_lshrrev_b32_e32 v13, v10, v8
	v_lshlrev_b32_e32 v10, v10, v13
	v_cmp_ne_u32_e32 vcc, v10, v8
	v_fma_f16 v0, v11, v12, -v0
	v_cndmask_b32_e64 v8, 0, 1, vcc
	v_add_u32_e32 v10, 0xfffffc10, v9
	v_cvt_f32_f16_e32 v0, v0
	v_or_b32_e32 v8, v13, v8
	v_lshl_or_b32 v9, v10, 12, v6
	v_cmp_gt_i32_e32 vcc, 1, v10
	v_cndmask_b32_e32 v8, v9, v8, vcc
	v_and_b32_e32 v9, 7, v8
	v_cmp_lt_i32_e32 vcc, 5, v9
	v_cmp_eq_u32_e64 s[0:1], 3, v9
	v_lshrrev_b32_e32 v11, 2, v8
	v_cvt_f64_f32_e32 v[8:9], v0
	s_or_b64 vcc, s[0:1], vcc
	v_addc_co_u32_e32 v0, vcc, 0, v11, vcc
	v_mul_f64 v[8:9], v[8:9], s[14:15]
	v_cmp_gt_i32_e32 vcc, 31, v10
	v_cndmask_b32_e32 v0, v4, v0, vcc
	v_cmp_ne_u32_e32 vcc, 0, v6
	v_cndmask_b32_e64 v6, 0, 1, vcc
	v_lshl_or_b32 v6, v6, 9, v4
	v_cmp_eq_u32_e32 vcc, s16, v10
	v_cndmask_b32_e32 v0, v0, v6, vcc
	v_lshrrev_b32_e32 v6, 16, v7
	v_and_or_b32 v0, v6, s10, v0
	v_and_or_b32 v6, v9, s18, v8
	v_cmp_ne_u32_e32 vcc, 0, v6
	v_cndmask_b32_e64 v6, 0, 1, vcc
	v_lshrrev_b32_e32 v7, 8, v9
	v_bfe_u32 v8, v9, 20, 11
	v_and_or_b32 v6, v7, s17, v6
	v_sub_u32_e32 v10, 0x3f1, v8
	v_or_b32_e32 v7, 0x1000, v6
	v_med3_i32 v10, v10, 0, 13
	v_lshrrev_b32_e32 v11, v10, v7
	v_lshlrev_b32_e32 v10, v10, v11
	v_cmp_ne_u32_e32 vcc, v10, v7
	v_cndmask_b32_e64 v7, 0, 1, vcc
	v_add_u32_e32 v8, 0xfffffc10, v8
	v_or_b32_e32 v7, v11, v7
	v_lshl_or_b32 v10, v8, 12, v6
	v_cmp_gt_i32_e32 vcc, 1, v8
	v_cndmask_b32_e32 v7, v10, v7, vcc
	v_and_b32_e32 v10, 7, v7
	v_cmp_lt_i32_e32 vcc, 5, v10
	v_cmp_eq_u32_e64 s[0:1], 3, v10
	v_lshrrev_b32_e32 v7, 2, v7
	s_or_b64 vcc, s[0:1], vcc
	v_addc_co_u32_e32 v7, vcc, 0, v7, vcc
	v_cmp_gt_i32_e32 vcc, 31, v8
	v_cndmask_b32_e32 v7, v4, v7, vcc
	v_cmp_ne_u32_e32 vcc, 0, v6
	v_cndmask_b32_e64 v6, 0, 1, vcc
	v_lshl_or_b32 v6, v6, 9, v4
	v_cmp_eq_u32_e32 vcc, s16, v8
	v_cndmask_b32_e32 v8, v7, v6, vcc
	v_lshrrev_b32_e32 v9, 16, v9
	v_and_or_b32 v8, v9, s10, v8
	global_load_dword v9, v31, s[6:7] offset:2548
	v_lshrrev_b32_e32 v10, 16, v1
	s_waitcnt vmcnt(6)
	v_mul_f16_sdwa v11, v10, v5 dst_sel:DWORD dst_unused:UNUSED_PAD src0_sel:DWORD src1_sel:WORD_1
	v_fma_f16 v11, v1, v5, v11
	v_cvt_f32_f16_e32 v11, v11
	v_and_b32_e32 v0, 0xffff, v0
	v_lshl_or_b32 v0, v8, 16, v0
	v_mov_b32_e32 v8, s2
	v_cvt_f64_f32_e32 v[6:7], v11
	v_add_co_u32_e32 v2, vcc, s3, v2
	v_addc_co_u32_e32 v3, vcc, v3, v8, vcc
	v_mul_f64 v[6:7], v[6:7], s[14:15]
	global_store_dword v[2:3], v0, off
	v_mul_f16_sdwa v1, v1, v5 dst_sel:DWORD dst_unused:UNUSED_PAD src0_sel:DWORD src1_sel:WORD_1
	v_fma_f16 v1, v5, v10, -v1
	v_cvt_f32_f16_e32 v1, v1
	v_and_or_b32 v0, v7, s18, v6
	v_cmp_ne_u32_e32 vcc, 0, v0
	v_cndmask_b32_e64 v0, 0, 1, vcc
	v_lshrrev_b32_e32 v6, 8, v7
	v_bfe_u32 v8, v7, 20, 11
	v_and_or_b32 v6, v6, s17, v0
	v_sub_u32_e32 v11, 0x3f1, v8
	v_or_b32_e32 v0, 0x1000, v6
	v_med3_i32 v11, v11, 0, 13
	v_lshrrev_b32_e32 v12, v11, v0
	v_lshlrev_b32_e32 v11, v11, v12
	v_cmp_ne_u32_e32 vcc, v11, v0
	v_cndmask_b32_e64 v0, 0, 1, vcc
	v_add_u32_e32 v8, 0xfffffc10, v8
	v_or_b32_e32 v0, v12, v0
	global_load_dword v12, v31, s[6:7] offset:2912
	v_lshl_or_b32 v11, v8, 12, v6
	v_cmp_gt_i32_e32 vcc, 1, v8
	v_cndmask_b32_e32 v0, v11, v0, vcc
	v_and_b32_e32 v11, 7, v0
	v_lshrrev_b32_e32 v5, 2, v0
	v_cvt_f64_f32_e32 v[0:1], v1
	v_cmp_lt_i32_e32 vcc, 5, v11
	v_cmp_eq_u32_e64 s[0:1], 3, v11
	s_or_b64 vcc, s[0:1], vcc
	v_mul_f64 v[0:1], v[0:1], s[14:15]
	v_addc_co_u32_e32 v5, vcc, 0, v5, vcc
	v_cmp_gt_i32_e32 vcc, 31, v8
	v_cndmask_b32_e32 v5, v4, v5, vcc
	v_cmp_ne_u32_e32 vcc, 0, v6
	v_cndmask_b32_e64 v6, 0, 1, vcc
	v_lshl_or_b32 v6, v6, 9, v4
	v_cmp_eq_u32_e32 vcc, s16, v8
	v_and_or_b32 v0, v1, s18, v0
	v_cndmask_b32_e32 v5, v5, v6, vcc
	v_lshrrev_b32_e32 v6, 16, v7
	v_cmp_ne_u32_e32 vcc, 0, v0
	v_and_or_b32 v10, v6, s10, v5
	v_cndmask_b32_e64 v0, 0, 1, vcc
	v_lshrrev_b32_e32 v5, 8, v1
	v_bfe_u32 v6, v1, 20, 11
	v_and_or_b32 v0, v5, s17, v0
	v_sub_u32_e32 v7, 0x3f1, v6
	v_or_b32_e32 v5, 0x1000, v0
	v_med3_i32 v7, v7, 0, 13
	v_lshrrev_b32_e32 v8, v7, v5
	v_lshlrev_b32_e32 v7, v7, v8
	v_cmp_ne_u32_e32 vcc, v7, v5
	v_cndmask_b32_e64 v5, 0, 1, vcc
	v_add_u32_e32 v7, 0xfffffc10, v6
	v_or_b32_e32 v5, v8, v5
	v_lshl_or_b32 v6, v7, 12, v0
	v_cmp_gt_i32_e32 vcc, 1, v7
	v_cndmask_b32_e32 v5, v6, v5, vcc
	v_and_b32_e32 v6, 7, v5
	v_cmp_lt_i32_e32 vcc, 5, v6
	v_cmp_eq_u32_e64 s[0:1], 3, v6
	v_lshrrev_b32_e32 v5, 2, v5
	s_or_b64 vcc, s[0:1], vcc
	v_addc_co_u32_e32 v8, vcc, 0, v5, vcc
	v_add_u32_e32 v5, 0x800, v31
	ds_read2_b32 v[5:6], v5 offset0:125 offset1:216
	v_cmp_gt_i32_e32 vcc, 31, v7
	v_cndmask_b32_e32 v8, v4, v8, vcc
	v_cmp_ne_u32_e32 vcc, 0, v0
	v_cndmask_b32_e64 v0, 0, 1, vcc
	s_waitcnt lgkmcnt(0)
	v_lshrrev_b32_e32 v11, 16, v5
	s_waitcnt vmcnt(2)
	v_mul_f16_sdwa v13, v11, v9 dst_sel:DWORD dst_unused:UNUSED_PAD src0_sel:DWORD src1_sel:WORD_1
	v_fma_f16 v13, v5, v9, v13
	v_cvt_f32_f16_e32 v13, v13
	v_lshl_or_b32 v0, v0, 9, v4
	v_cmp_eq_u32_e32 vcc, s16, v7
	v_cndmask_b32_e32 v0, v8, v0, vcc
	v_cvt_f64_f32_e32 v[7:8], v13
	v_lshrrev_b32_e32 v1, 16, v1
	v_and_or_b32 v13, v1, s10, v0
	v_add_co_u32_e32 v2, vcc, s3, v2
	v_mul_f64 v[0:1], v[7:8], s[14:15]
	v_mov_b32_e32 v8, s2
	v_and_b32_e32 v10, 0xffff, v10
	v_addc_co_u32_e32 v3, vcc, v3, v8, vcc
	v_lshl_or_b32 v7, v13, 16, v10
	global_store_dword v[2:3], v7, off
	v_mul_f16_sdwa v5, v5, v9 dst_sel:DWORD dst_unused:UNUSED_PAD src0_sel:DWORD src1_sel:WORD_1
	v_and_or_b32 v0, v1, s18, v0
	v_cmp_ne_u32_e32 vcc, 0, v0
	v_cndmask_b32_e64 v0, 0, 1, vcc
	v_lshrrev_b32_e32 v7, 8, v1
	v_bfe_u32 v8, v1, 20, 11
	v_and_or_b32 v0, v7, s17, v0
	v_sub_u32_e32 v10, 0x3f1, v8
	v_or_b32_e32 v7, 0x1000, v0
	v_med3_i32 v10, v10, 0, 13
	v_lshrrev_b32_e32 v13, v10, v7
	v_lshlrev_b32_e32 v10, v10, v13
	v_cmp_ne_u32_e32 vcc, v10, v7
	v_fma_f16 v5, v9, v11, -v5
	v_cndmask_b32_e64 v7, 0, 1, vcc
	v_add_u32_e32 v10, 0xfffffc10, v8
	v_cvt_f32_f16_e32 v5, v5
	v_or_b32_e32 v7, v13, v7
	v_lshl_or_b32 v8, v10, 12, v0
	v_cmp_gt_i32_e32 vcc, 1, v10
	v_cndmask_b32_e32 v7, v8, v7, vcc
	v_and_b32_e32 v8, 7, v7
	v_cmp_lt_i32_e32 vcc, 5, v8
	v_cmp_eq_u32_e64 s[0:1], 3, v8
	v_lshrrev_b32_e32 v9, 2, v7
	v_cvt_f64_f32_e32 v[7:8], v5
	s_or_b64 vcc, s[0:1], vcc
	v_addc_co_u32_e32 v5, vcc, 0, v9, vcc
	v_mul_f64 v[7:8], v[7:8], s[14:15]
	v_cmp_gt_i32_e32 vcc, 31, v10
	v_cndmask_b32_e32 v5, v4, v5, vcc
	v_cmp_ne_u32_e32 vcc, 0, v0
	v_cndmask_b32_e64 v0, 0, 1, vcc
	v_lshl_or_b32 v0, v0, 9, v4
	v_cmp_eq_u32_e32 vcc, s16, v10
	v_cndmask_b32_e32 v0, v5, v0, vcc
	v_lshrrev_b32_e32 v1, 16, v1
	v_and_or_b32 v5, v1, s10, v0
	v_and_or_b32 v0, v8, s18, v7
	v_cmp_ne_u32_e32 vcc, 0, v0
	v_cndmask_b32_e64 v0, 0, 1, vcc
	v_lshrrev_b32_e32 v1, 8, v8
	v_bfe_u32 v7, v8, 20, 11
	v_and_or_b32 v0, v1, s17, v0
	v_sub_u32_e32 v9, 0x3f1, v7
	v_or_b32_e32 v1, 0x1000, v0
	v_med3_i32 v9, v9, 0, 13
	v_lshrrev_b32_e32 v10, v9, v1
	v_lshlrev_b32_e32 v9, v9, v10
	v_cmp_ne_u32_e32 vcc, v9, v1
	v_cndmask_b32_e64 v1, 0, 1, vcc
	v_add_u32_e32 v7, 0xfffffc10, v7
	v_or_b32_e32 v1, v10, v1
	v_lshl_or_b32 v9, v7, 12, v0
	v_cmp_gt_i32_e32 vcc, 1, v7
	v_cndmask_b32_e32 v1, v9, v1, vcc
	v_and_b32_e32 v9, 7, v1
	v_cmp_lt_i32_e32 vcc, 5, v9
	v_cmp_eq_u32_e64 s[0:1], 3, v9
	v_lshrrev_b32_e32 v9, 16, v6
	v_lshrrev_b32_e32 v1, 2, v1
	s_or_b64 vcc, s[0:1], vcc
	s_waitcnt vmcnt(1)
	v_mul_f16_sdwa v10, v9, v12 dst_sel:DWORD dst_unused:UNUSED_PAD src0_sel:DWORD src1_sel:WORD_1
	v_addc_co_u32_e32 v1, vcc, 0, v1, vcc
	v_fma_f16 v10, v6, v12, v10
	v_cmp_gt_i32_e32 vcc, 31, v7
	v_cvt_f32_f16_e32 v10, v10
	v_cndmask_b32_e32 v1, v4, v1, vcc
	v_cmp_ne_u32_e32 vcc, 0, v0
	v_cndmask_b32_e64 v0, 0, 1, vcc
	v_lshl_or_b32 v0, v0, 9, v4
	v_cmp_eq_u32_e32 vcc, s16, v7
	v_cndmask_b32_e32 v7, v1, v0, vcc
	v_cvt_f64_f32_e32 v[0:1], v10
	v_lshrrev_b32_e32 v8, 16, v8
	v_and_or_b32 v7, v8, s10, v7
	v_and_b32_e32 v5, 0xffff, v5
	v_mul_f64 v[0:1], v[0:1], s[14:15]
	v_lshl_or_b32 v5, v7, 16, v5
	v_mov_b32_e32 v7, s2
	v_add_co_u32_e32 v2, vcc, s3, v2
	v_addc_co_u32_e32 v3, vcc, v3, v7, vcc
	global_store_dword v[2:3], v5, off
	v_and_or_b32 v0, v1, s18, v0
	v_cmp_ne_u32_e32 vcc, 0, v0
	v_cndmask_b32_e64 v0, 0, 1, vcc
	v_lshrrev_b32_e32 v5, 8, v1
	v_bfe_u32 v7, v1, 20, 11
	v_and_or_b32 v0, v5, s17, v0
	v_sub_u32_e32 v8, 0x3f1, v7
	v_or_b32_e32 v5, 0x1000, v0
	v_med3_i32 v8, v8, 0, 13
	v_lshrrev_b32_e32 v10, v8, v5
	v_lshlrev_b32_e32 v8, v8, v10
	v_mul_f16_sdwa v6, v6, v12 dst_sel:DWORD dst_unused:UNUSED_PAD src0_sel:DWORD src1_sel:WORD_1
	v_cmp_ne_u32_e32 vcc, v8, v5
	v_fma_f16 v6, v12, v9, -v6
	v_cndmask_b32_e64 v5, 0, 1, vcc
	v_add_u32_e32 v7, 0xfffffc10, v7
	v_cvt_f32_f16_e32 v6, v6
	v_or_b32_e32 v5, v10, v5
	v_lshl_or_b32 v8, v7, 12, v0
	v_cmp_gt_i32_e32 vcc, 1, v7
	v_cndmask_b32_e32 v5, v8, v5, vcc
	v_and_b32_e32 v8, 7, v5
	v_cmp_lt_i32_e32 vcc, 5, v8
	v_cmp_eq_u32_e64 s[0:1], 3, v8
	v_lshrrev_b32_e32 v8, 2, v5
	v_cvt_f64_f32_e32 v[5:6], v6
	s_or_b64 vcc, s[0:1], vcc
	v_addc_co_u32_e32 v8, vcc, 0, v8, vcc
	v_mul_f64 v[5:6], v[5:6], s[14:15]
	v_cmp_gt_i32_e32 vcc, 31, v7
	v_cndmask_b32_e32 v8, v4, v8, vcc
	v_cmp_ne_u32_e32 vcc, 0, v0
	v_cndmask_b32_e64 v0, 0, 1, vcc
	v_lshl_or_b32 v0, v0, 9, v4
	v_cmp_eq_u32_e32 vcc, s16, v7
	v_cndmask_b32_e32 v0, v8, v0, vcc
	v_lshrrev_b32_e32 v1, 16, v1
	v_and_or_b32 v0, v1, s10, v0
	v_and_or_b32 v1, v6, s18, v5
	v_cmp_ne_u32_e32 vcc, 0, v1
	v_cndmask_b32_e64 v1, 0, 1, vcc
	v_lshrrev_b32_e32 v5, 8, v6
	v_bfe_u32 v7, v6, 20, 11
	v_and_or_b32 v1, v5, s17, v1
	v_sub_u32_e32 v8, 0x3f1, v7
	v_or_b32_e32 v5, 0x1000, v1
	v_med3_i32 v8, v8, 0, 13
	v_lshrrev_b32_e32 v9, v8, v5
	v_lshlrev_b32_e32 v8, v8, v9
	v_cmp_ne_u32_e32 vcc, v8, v5
	v_cndmask_b32_e64 v5, 0, 1, vcc
	v_add_u32_e32 v7, 0xfffffc10, v7
	v_or_b32_e32 v5, v9, v5
	v_lshl_or_b32 v8, v7, 12, v1
	v_cmp_gt_i32_e32 vcc, 1, v7
	v_cndmask_b32_e32 v5, v8, v5, vcc
	v_and_b32_e32 v8, 7, v5
	v_cmp_lt_i32_e32 vcc, 5, v8
	v_cmp_eq_u32_e64 s[0:1], 3, v8
	v_lshrrev_b32_e32 v5, 2, v5
	s_or_b64 vcc, s[0:1], vcc
	v_addc_co_u32_e32 v5, vcc, 0, v5, vcc
	v_cmp_gt_i32_e32 vcc, 31, v7
	v_cndmask_b32_e32 v5, v4, v5, vcc
	v_cmp_ne_u32_e32 vcc, 0, v1
	v_cndmask_b32_e64 v1, 0, 1, vcc
	v_lshl_or_b32 v1, v1, 9, v4
	v_cmp_eq_u32_e32 vcc, s16, v7
	v_cndmask_b32_e32 v1, v5, v1, vcc
	v_lshrrev_b32_e32 v4, 16, v6
	v_and_or_b32 v1, v4, s10, v1
	v_and_b32_e32 v0, 0xffff, v0
	v_lshl_or_b32 v4, v1, 16, v0
	v_mov_b32_e32 v1, s2
	v_add_co_u32_e32 v0, vcc, s3, v2
	v_addc_co_u32_e32 v1, vcc, v3, v1, vcc
	global_store_dword v[0:1], v4, off
.LBB0_23:
	s_endpgm
	.section	.rodata,"a",@progbits
	.p2align	6, 0x0
	.amdhsa_kernel bluestein_single_fwd_len819_dim1_half_op_CI_CI
		.amdhsa_group_segment_fixed_size 3276
		.amdhsa_private_segment_fixed_size 0
		.amdhsa_kernarg_size 104
		.amdhsa_user_sgpr_count 6
		.amdhsa_user_sgpr_private_segment_buffer 1
		.amdhsa_user_sgpr_dispatch_ptr 0
		.amdhsa_user_sgpr_queue_ptr 0
		.amdhsa_user_sgpr_kernarg_segment_ptr 1
		.amdhsa_user_sgpr_dispatch_id 0
		.amdhsa_user_sgpr_flat_scratch_init 0
		.amdhsa_user_sgpr_private_segment_size 0
		.amdhsa_uses_dynamic_stack 0
		.amdhsa_system_sgpr_private_segment_wavefront_offset 0
		.amdhsa_system_sgpr_workgroup_id_x 1
		.amdhsa_system_sgpr_workgroup_id_y 0
		.amdhsa_system_sgpr_workgroup_id_z 0
		.amdhsa_system_sgpr_workgroup_info 0
		.amdhsa_system_vgpr_workitem_id 0
		.amdhsa_next_free_vgpr 106
		.amdhsa_next_free_sgpr 28
		.amdhsa_reserve_vcc 1
		.amdhsa_reserve_flat_scratch 0
		.amdhsa_float_round_mode_32 0
		.amdhsa_float_round_mode_16_64 0
		.amdhsa_float_denorm_mode_32 3
		.amdhsa_float_denorm_mode_16_64 3
		.amdhsa_dx10_clamp 1
		.amdhsa_ieee_mode 1
		.amdhsa_fp16_overflow 0
		.amdhsa_exception_fp_ieee_invalid_op 0
		.amdhsa_exception_fp_denorm_src 0
		.amdhsa_exception_fp_ieee_div_zero 0
		.amdhsa_exception_fp_ieee_overflow 0
		.amdhsa_exception_fp_ieee_underflow 0
		.amdhsa_exception_fp_ieee_inexact 0
		.amdhsa_exception_int_div_zero 0
	.end_amdhsa_kernel
	.text
.Lfunc_end0:
	.size	bluestein_single_fwd_len819_dim1_half_op_CI_CI, .Lfunc_end0-bluestein_single_fwd_len819_dim1_half_op_CI_CI
                                        ; -- End function
	.section	.AMDGPU.csdata,"",@progbits
; Kernel info:
; codeLenInByte = 16948
; NumSgprs: 32
; NumVgprs: 106
; ScratchSize: 0
; MemoryBound: 0
; FloatMode: 240
; IeeeMode: 1
; LDSByteSize: 3276 bytes/workgroup (compile time only)
; SGPRBlocks: 3
; VGPRBlocks: 26
; NumSGPRsForWavesPerEU: 32
; NumVGPRsForWavesPerEU: 106
; Occupancy: 2
; WaveLimiterHint : 1
; COMPUTE_PGM_RSRC2:SCRATCH_EN: 0
; COMPUTE_PGM_RSRC2:USER_SGPR: 6
; COMPUTE_PGM_RSRC2:TRAP_HANDLER: 0
; COMPUTE_PGM_RSRC2:TGID_X_EN: 1
; COMPUTE_PGM_RSRC2:TGID_Y_EN: 0
; COMPUTE_PGM_RSRC2:TGID_Z_EN: 0
; COMPUTE_PGM_RSRC2:TIDIG_COMP_CNT: 0
	.type	__hip_cuid_9652b97eb56b07aa,@object ; @__hip_cuid_9652b97eb56b07aa
	.section	.bss,"aw",@nobits
	.globl	__hip_cuid_9652b97eb56b07aa
__hip_cuid_9652b97eb56b07aa:
	.byte	0                               ; 0x0
	.size	__hip_cuid_9652b97eb56b07aa, 1

	.ident	"AMD clang version 19.0.0git (https://github.com/RadeonOpenCompute/llvm-project roc-6.4.0 25133 c7fe45cf4b819c5991fe208aaa96edf142730f1d)"
	.section	".note.GNU-stack","",@progbits
	.addrsig
	.addrsig_sym __hip_cuid_9652b97eb56b07aa
	.amdgpu_metadata
---
amdhsa.kernels:
  - .args:
      - .actual_access:  read_only
        .address_space:  global
        .offset:         0
        .size:           8
        .value_kind:     global_buffer
      - .actual_access:  read_only
        .address_space:  global
        .offset:         8
        .size:           8
        .value_kind:     global_buffer
      - .actual_access:  read_only
        .address_space:  global
        .offset:         16
        .size:           8
        .value_kind:     global_buffer
      - .actual_access:  read_only
        .address_space:  global
        .offset:         24
        .size:           8
        .value_kind:     global_buffer
      - .actual_access:  read_only
        .address_space:  global
        .offset:         32
        .size:           8
        .value_kind:     global_buffer
      - .offset:         40
        .size:           8
        .value_kind:     by_value
      - .address_space:  global
        .offset:         48
        .size:           8
        .value_kind:     global_buffer
      - .address_space:  global
        .offset:         56
        .size:           8
        .value_kind:     global_buffer
      - .address_space:  global
        .offset:         64
        .size:           8
        .value_kind:     global_buffer
      - .address_space:  global
        .offset:         72
        .size:           8
        .value_kind:     global_buffer
      - .offset:         80
        .size:           4
        .value_kind:     by_value
      - .address_space:  global
        .offset:         88
        .size:           8
        .value_kind:     global_buffer
      - .address_space:  global
        .offset:         96
        .size:           8
        .value_kind:     global_buffer
    .group_segment_fixed_size: 3276
    .kernarg_segment_align: 8
    .kernarg_segment_size: 104
    .language:       OpenCL C
    .language_version:
      - 2
      - 0
    .max_flat_workgroup_size: 117
    .name:           bluestein_single_fwd_len819_dim1_half_op_CI_CI
    .private_segment_fixed_size: 0
    .sgpr_count:     32
    .sgpr_spill_count: 0
    .symbol:         bluestein_single_fwd_len819_dim1_half_op_CI_CI.kd
    .uniform_work_group_size: 1
    .uses_dynamic_stack: false
    .vgpr_count:     106
    .vgpr_spill_count: 0
    .wavefront_size: 64
amdhsa.target:   amdgcn-amd-amdhsa--gfx906
amdhsa.version:
  - 1
  - 2
...

	.end_amdgpu_metadata
